;; amdgpu-corpus repo=ROCm/rocFFT kind=compiled arch=gfx906 opt=O3
	.text
	.amdgcn_target "amdgcn-amd-amdhsa--gfx906"
	.amdhsa_code_object_version 6
	.protected	bluestein_single_fwd_len3888_dim1_sp_op_CI_CI ; -- Begin function bluestein_single_fwd_len3888_dim1_sp_op_CI_CI
	.globl	bluestein_single_fwd_len3888_dim1_sp_op_CI_CI
	.p2align	8
	.type	bluestein_single_fwd_len3888_dim1_sp_op_CI_CI,@function
bluestein_single_fwd_len3888_dim1_sp_op_CI_CI: ; @bluestein_single_fwd_len3888_dim1_sp_op_CI_CI
; %bb.0:
	s_load_dwordx4 s[8:11], s[4:5], 0x28
	v_mul_u32_u24_e32 v1, 0x195, v0
	s_mov_b64 s[22:23], s[2:3]
	v_lshrrev_b32_e32 v1, 17, v1
	s_mov_b64 s[20:21], s[0:1]
	v_add_u32_e32 v114, s6, v1
	v_mov_b32_e32 v115, 0
	s_add_u32 s20, s20, s7
	s_waitcnt lgkmcnt(0)
	v_cmp_gt_u64_e32 vcc, s[8:9], v[114:115]
	s_addc_u32 s21, s21, 0
	s_and_saveexec_b64 s[0:1], vcc
	s_cbranch_execz .LBB0_17
; %bb.1:
	s_load_dwordx2 s[12:13], s[4:5], 0x0
	s_load_dwordx2 s[8:9], s[4:5], 0x38
	v_mul_lo_u16_e32 v1, 0x144, v1
	v_sub_u16_e32 v112, v0, v1
	s_movk_i32 s0, 0xf2
	v_cmp_lt_u16_e64 s[2:3], s0, v112
	s_movk_i32 s0, 0xf3
	v_cmp_gt_u16_e64 s[0:1], s0, v112
	v_lshlrev_b32_e32 v113, 3, v112
	s_and_saveexec_b64 s[6:7], s[0:1]
	s_cbranch_execz .LBB0_3
; %bb.2:
	s_load_dwordx2 s[14:15], s[4:5], 0x18
	s_waitcnt lgkmcnt(0)
	s_load_dwordx4 s[16:19], s[14:15], 0x0
	s_waitcnt lgkmcnt(0)
	v_mad_u64_u32 v[0:1], s[14:15], s18, v114, 0
	v_mad_u64_u32 v[2:3], s[14:15], s16, v112, 0
	;; [unrolled: 1-line block ×4, first 2 shown]
	v_mov_b32_e32 v1, v4
	v_lshlrev_b64 v[0:1], 3, v[0:1]
	v_mov_b32_e32 v3, v5
	v_mov_b32_e32 v6, s11
	v_lshlrev_b64 v[2:3], 3, v[2:3]
	v_add_co_u32_e32 v0, vcc, s10, v0
	v_addc_co_u32_e32 v1, vcc, v6, v1, vcc
	v_add_co_u32_e32 v12, vcc, v0, v2
	v_addc_co_u32_e32 v13, vcc, v1, v3, vcc
	v_mov_b32_e32 v0, s13
	v_add_co_u32_e32 v11, vcc, s12, v113
	s_mul_i32 s10, s17, 0x798
	s_mul_hi_u32 s11, s16, 0x798
	v_addc_co_u32_e32 v10, vcc, 0, v0, vcc
	s_add_i32 s10, s11, s10
	s_mul_i32 s11, s16, 0x798
	v_mov_b32_e32 v0, s10
	v_add_co_u32_e32 v14, vcc, s11, v12
	v_addc_co_u32_e32 v15, vcc, v13, v0, vcc
	v_add_co_u32_e32 v16, vcc, s11, v14
	v_addc_co_u32_e32 v17, vcc, v15, v0, vcc
	v_mov_b32_e32 v6, s10
	v_add_co_u32_e32 v18, vcc, s11, v16
	v_addc_co_u32_e32 v19, vcc, v17, v6, vcc
	s_movk_i32 s14, 0x1000
	global_load_dwordx2 v[4:5], v113, s[12:13]
	global_load_dwordx2 v[2:3], v113, s[12:13] offset:1944
	global_load_dwordx2 v[0:1], v113, s[12:13] offset:3888
	global_load_dwordx2 v[20:21], v[12:13], off
	global_load_dwordx2 v[22:23], v[14:15], off
	global_load_dwordx2 v[8:9], v[16:17], off
	global_load_dwordx2 v[6:7], v[18:19], off
	v_add_co_u32_e32 v12, vcc, s14, v11
	v_addc_co_u32_e32 v13, vcc, 0, v10, vcc
	v_mov_b32_e32 v15, s10
	v_add_co_u32_e32 v14, vcc, s11, v18
	v_addc_co_u32_e32 v15, vcc, v19, v15, vcc
	global_load_dwordx2 v[16:17], v[14:15], off
	global_load_dwordx2 v[18:19], v[12:13], off offset:1736
	global_load_dwordx2 v[24:25], v[12:13], off offset:3680
	v_mov_b32_e32 v13, s10
	v_add_co_u32_e32 v12, vcc, s11, v14
	v_addc_co_u32_e32 v13, vcc, v15, v13, vcc
	s_movk_i32 s14, 0x2000
	v_add_co_u32_e32 v26, vcc, s14, v11
	v_addc_co_u32_e32 v27, vcc, 0, v10, vcc
	global_load_dwordx2 v[14:15], v[12:13], off
	v_mov_b32_e32 v28, s10
	v_add_co_u32_e32 v12, vcc, s11, v12
	v_addc_co_u32_e32 v13, vcc, v13, v28, vcc
	global_load_dwordx2 v[28:29], v[12:13], off
	global_load_dwordx2 v[30:31], v[26:27], off offset:1528
	global_load_dwordx2 v[32:33], v[26:27], off offset:3472
	v_mov_b32_e32 v26, s10
	v_add_co_u32_e32 v12, vcc, s11, v12
	v_addc_co_u32_e32 v13, vcc, v13, v26, vcc
	s_movk_i32 s14, 0x3000
	v_add_co_u32_e32 v34, vcc, s14, v11
	v_addc_co_u32_e32 v35, vcc, 0, v10, vcc
	global_load_dwordx2 v[26:27], v[12:13], off
	;; [unrolled: 13-line block ×5, first 2 shown]
	v_mov_b32_e32 v60, s10
	v_add_co_u32_e32 v12, vcc, s11, v12
	v_addc_co_u32_e32 v13, vcc, v13, v60, vcc
	global_load_dwordx2 v[60:61], v[12:13], off
	global_load_dwordx2 v[62:63], v[58:59], off offset:696
	s_nop 0
	global_load_dwordx2 v[58:59], v[58:59], off offset:2640
	v_mov_b32_e32 v64, s10
	v_add_co_u32_e32 v12, vcc, s11, v12
	v_addc_co_u32_e32 v13, vcc, v13, v64, vcc
	v_add_co_u32_e32 v64, vcc, 0x7000, v11
	v_addc_co_u32_e32 v65, vcc, 0, v10, vcc
	global_load_dwordx2 v[12:13], v[12:13], off
	s_nop 0
	global_load_dwordx2 v[10:11], v[64:65], off offset:488
	s_waitcnt vmcnt(28)
	v_mul_f32_e32 v64, v21, v5
	v_mul_f32_e32 v5, v20, v5
	v_fmac_f32_e32 v64, v20, v4
	v_fma_f32 v65, v21, v4, -v5
	s_waitcnt vmcnt(27)
	v_mul_f32_e32 v4, v23, v3
	v_mul_f32_e32 v3, v22, v3
	v_fmac_f32_e32 v4, v22, v2
	v_fma_f32 v5, v23, v2, -v3
	s_waitcnt vmcnt(26)
	v_mul_f32_e32 v2, v9, v1
	v_mul_f32_e32 v1, v8, v1
	v_fmac_f32_e32 v2, v8, v0
	v_fma_f32 v3, v9, v0, -v1
	s_waitcnt vmcnt(23)
	v_mul_f32_e32 v0, v7, v19
	v_mul_f32_e32 v1, v6, v19
	ds_write2_b64 v113, v[64:65], v[4:5] offset1:243
	v_fmac_f32_e32 v0, v6, v18
	v_fma_f32 v1, v7, v18, -v1
	v_add_u32_e32 v4, 0xf00, v113
	ds_write2_b64 v4, v[2:3], v[0:1] offset0:6 offset1:249
	s_waitcnt vmcnt(22)
	v_mul_f32_e32 v0, v17, v25
	v_mul_f32_e32 v1, v16, v25
	s_waitcnt vmcnt(19)
	v_mul_f32_e32 v2, v15, v31
	v_mul_f32_e32 v3, v14, v31
	v_fmac_f32_e32 v0, v16, v24
	v_fma_f32 v1, v17, v24, -v1
	v_fmac_f32_e32 v2, v14, v30
	v_fma_f32 v3, v15, v30, -v3
	v_add_u32_e32 v4, 0x1e00, v113
	ds_write2_b64 v4, v[0:1], v[2:3] offset0:12 offset1:255
	s_waitcnt vmcnt(18)
	v_mul_f32_e32 v0, v29, v33
	v_mul_f32_e32 v1, v28, v33
	s_waitcnt vmcnt(15)
	v_mul_f32_e32 v2, v27, v39
	v_mul_f32_e32 v3, v26, v39
	v_fmac_f32_e32 v0, v28, v32
	v_fma_f32 v1, v29, v32, -v1
	;; [unrolled: 12-line block ×4, first 2 shown]
	v_fmac_f32_e32 v2, v42, v54
	v_fma_f32 v3, v43, v54, -v3
	v_add_u32_e32 v4, 0x4bc0, v113
	ds_write2_b64 v4, v[0:1], v[2:3] offset0:6 offset1:249
	s_waitcnt vmcnt(6)
	v_mul_f32_e32 v0, v53, v57
	v_mul_f32_e32 v1, v52, v57
	v_fmac_f32_e32 v0, v52, v56
	v_fma_f32 v1, v53, v56, -v1
	v_add_u32_e32 v4, 0x5b00, v113
	s_waitcnt vmcnt(3)
	v_mul_f32_e32 v2, v51, v63
	v_mul_f32_e32 v3, v50, v63
	v_fmac_f32_e32 v2, v50, v62
	v_fma_f32 v3, v51, v62, -v3
	ds_write2_b64 v4, v[0:1], v[2:3] offset0:4 offset1:247
	s_waitcnt vmcnt(2)
	v_mul_f32_e32 v0, v61, v59
	v_mul_f32_e32 v1, v60, v59
	v_fmac_f32_e32 v0, v60, v58
	v_fma_f32 v1, v61, v58, -v1
	v_add_u32_e32 v4, 0x6a00, v113
	s_waitcnt vmcnt(0)
	v_mul_f32_e32 v2, v13, v11
	v_mul_f32_e32 v3, v12, v11
	v_fmac_f32_e32 v2, v12, v10
	v_fma_f32 v3, v13, v10, -v3
	ds_write2_b64 v4, v[0:1], v[2:3] offset0:10 offset1:253
.LBB0_3:
	s_or_b64 exec, exec, s[6:7]
	s_waitcnt lgkmcnt(0)
	s_barrier
	s_waitcnt lgkmcnt(0)
                                        ; implicit-def: $vgpr26
                                        ; implicit-def: $vgpr30
                                        ; implicit-def: $vgpr18
                                        ; implicit-def: $vgpr22
                                        ; implicit-def: $vgpr10
                                        ; implicit-def: $vgpr14
                                        ; implicit-def: $vgpr2
                                        ; implicit-def: $vgpr6
	s_and_saveexec_b64 s[6:7], s[0:1]
	s_cbranch_execz .LBB0_5
; %bb.4:
	v_add_u32_e32 v8, 0x1e00, v113
	v_add_u32_e32 v16, 0x3c80, v113
	;; [unrolled: 1-line block ×4, first 2 shown]
	ds_read2_b64 v[12:15], v8 offset0:12 offset1:255
	v_add_u32_e32 v8, 0x2d80, v113
	ds_read2_b64 v[20:23], v16 offset0:8 offset1:251
	v_add_u32_e32 v16, 0x4bc0, v113
	;; [unrolled: 2-line block ×3, first 2 shown]
	ds_read2_b64 v[4:7], v113 offset1:243
	ds_read2_b64 v[0:3], v0 offset0:6 offset1:249
	ds_read2_b64 v[8:11], v8 offset0:2 offset1:245
	;; [unrolled: 1-line block ×4, first 2 shown]
.LBB0_5:
	s_or_b64 exec, exec, s[6:7]
	s_waitcnt lgkmcnt(4)
	v_sub_f32_e32 v20, v4, v20
	v_sub_f32_e32 v29, v13, v29
	;; [unrolled: 1-line block ×7, first 2 shown]
	s_waitcnt lgkmcnt(1)
	v_sub_f32_e32 v16, v0, v16
	s_waitcnt lgkmcnt(0)
	v_sub_f32_e32 v25, v9, v25
	v_sub_f32_e32 v36, v6, v22
	v_fma_f32 v7, v7, 2.0, -v23
	v_fma_f32 v31, v15, 2.0, -v30
	v_sub_f32_e32 v38, v3, v19
	v_sub_f32_e32 v26, v10, v26
	;; [unrolled: 1-line block ×4, first 2 shown]
	v_fma_f32 v4, v4, 2.0, -v20
	v_fma_f32 v12, v12, 2.0, -v28
	v_sub_f32_e32 v32, v1, v17
	v_sub_f32_e32 v33, v8, v24
	v_fma_f32 v35, v9, 2.0, -v25
	v_fma_f32 v6, v6, 2.0, -v36
	;; [unrolled: 1-line block ×3, first 2 shown]
	v_sub_f32_e32 v18, v2, v18
	v_fma_f32 v3, v3, 2.0, -v38
	v_fma_f32 v39, v10, 2.0, -v26
	;; [unrolled: 1-line block ×3, first 2 shown]
	v_add_f32_e32 v24, v28, v21
	v_fma_f32 v10, v20, 2.0, -v19
	v_sub_f32_e32 v20, v16, v25
	v_sub_f32_e32 v25, v7, v31
	;; [unrolled: 1-line block ×3, first 2 shown]
	v_fma_f32 v5, v5, 2.0, -v21
	v_fma_f32 v13, v13, 2.0, -v29
	;; [unrolled: 1-line block ×5, first 2 shown]
	v_sub_f32_e32 v11, v4, v12
	v_fma_f32 v15, v21, 2.0, -v24
	v_add_f32_e32 v28, v33, v32
	v_fma_f32 v33, v16, 2.0, -v20
	v_sub_f32_e32 v22, v6, v14
	v_fma_f32 v16, v7, 2.0, -v25
	v_add_f32_e32 v31, v37, v23
	v_fma_f32 v21, v36, 2.0, -v30
	v_sub_f32_e32 v7, v3, v40
	v_sub_f32_e32 v40, v18, v27
	v_mov_b32_e32 v37, v19
	v_sub_f32_e32 v17, v5, v13
	v_fma_f32 v8, v4, 2.0, -v11
	v_sub_f32_e32 v4, v0, v34
	v_fma_f32 v13, v6, 2.0, -v22
	v_fma_f32 v23, v23, 2.0, -v31
	v_sub_f32_e32 v6, v2, v39
	v_add_f32_e32 v41, v26, v38
	v_fma_f32 v34, v18, 2.0, -v40
	v_fmac_f32_e32 v37, 0x3f3504f3, v20
	v_mov_b32_e32 v39, v24
	v_mov_b32_e32 v27, v21
	s_load_dwordx2 s[6:7], s[4:5], 0x20
	s_load_dwordx2 s[10:11], s[4:5], 0x8
	v_fma_f32 v1, v1, 2.0, -v32
	v_fma_f32 v32, v32, 2.0, -v28
	v_fma_f32 v36, v38, 2.0, -v41
	v_mov_b32_e32 v26, v10
	v_mov_b32_e32 v29, v15
	v_fmac_f32_e32 v39, 0x3f3504f3, v28
	v_fmac_f32_e32 v37, 0xbf3504f3, v28
	;; [unrolled: 1-line block ×3, first 2 shown]
	v_mov_b32_e32 v28, v23
	v_fma_f32 v9, v5, 2.0, -v17
	v_sub_f32_e32 v5, v1, v35
	v_fmac_f32_e32 v26, 0xbf3504f3, v33
	v_fmac_f32_e32 v29, 0xbf3504f3, v32
	;; [unrolled: 1-line block ×4, first 2 shown]
	v_mov_b32_e32 v36, v30
	v_mov_b32_e32 v38, v31
	v_fma_f32 v2, v2, 2.0, -v6
	v_fma_f32 v3, v3, 2.0, -v7
	v_fmac_f32_e32 v26, 0xbf3504f3, v32
	v_fmac_f32_e32 v29, 0x3f3504f3, v33
	v_sub_f32_e32 v33, v11, v5
	v_add_f32_e32 v35, v4, v17
	v_fmac_f32_e32 v39, 0x3f3504f3, v20
	v_fmac_f32_e32 v36, 0x3f3504f3, v40
	;; [unrolled: 1-line block ×3, first 2 shown]
	v_fma_f32 v0, v0, 2.0, -v4
	v_fma_f32 v1, v1, 2.0, -v5
	v_sub_f32_e32 v18, v13, v2
	v_sub_f32_e32 v20, v16, v3
	v_fmac_f32_e32 v28, 0x3f3504f3, v34
	v_sub_f32_e32 v32, v22, v7
	v_add_f32_e32 v34, v6, v25
	v_fmac_f32_e32 v36, 0xbf3504f3, v41
	v_fmac_f32_e32 v38, 0x3f3504f3, v40
	v_mov_b32_e32 v2, v26
	v_mov_b32_e32 v3, v29
	;; [unrolled: 1-line block ×6, first 2 shown]
	v_sub_f32_e32 v12, v8, v0
	v_sub_f32_e32 v14, v9, v1
	v_fmac_f32_e32 v2, 0x3ec3ef15, v27
	v_fmac_f32_e32 v3, 0x3ec3ef15, v28
	;; [unrolled: 1-line block ×6, first 2 shown]
	v_lshlrev_b32_e32 v96, 4, v112
	s_waitcnt lgkmcnt(0)
	s_barrier
	s_and_saveexec_b64 s[4:5], s[2:3]
	s_xor_b64 s[2:3], exec, s[4:5]
                                        ; implicit-def: $vgpr55_vgpr56
; %bb.6:
	v_mov_b32_e32 v56, 0
                                        ; implicit-def: $vgpr11
                                        ; implicit-def: $vgpr17
                                        ; implicit-def: $vgpr8
                                        ; implicit-def: $vgpr9
                                        ; implicit-def: $vgpr19
                                        ; implicit-def: $vgpr24
                                        ; implicit-def: $vgpr10
                                        ; implicit-def: $vgpr15
                                        ; implicit-def: $vgpr22
                                        ; implicit-def: $vgpr25
                                        ; implicit-def: $vgpr13
                                        ; implicit-def: $vgpr16
                                        ; implicit-def: $vgpr30
                                        ; implicit-def: $vgpr31
                                        ; implicit-def: $vgpr21
                                        ; implicit-def: $vgpr23
                                        ; implicit-def: $vgpr26
                                        ; implicit-def: $vgpr29
                                        ; implicit-def: $vgpr33
                                        ; implicit-def: $vgpr35
                                        ; implicit-def: $vgpr37
                                        ; implicit-def: $vgpr39
; %bb.7:
	s_or_saveexec_b64 s[2:3], s[2:3]
	v_sub_f32_e32 v0, v12, v20
	v_add_f32_e32 v1, v18, v14
	v_fmac_f32_e32 v2, 0xbf6c835e, v28
	v_fmac_f32_e32 v3, 0x3f6c835e, v27
	;; [unrolled: 1-line block ×6, first 2 shown]
	s_xor_b64 exec, exec, s[2:3]
	s_cbranch_execz .LBB0_9
; %bb.8:
	v_fma_f32 v19, v19, 2.0, -v37
	v_fma_f32 v42, v37, 2.0, -v6
	;; [unrolled: 1-line block ×3, first 2 shown]
	v_mov_b32_e32 v37, v19
	v_fma_f32 v31, v31, 2.0, -v38
	v_fmac_f32_e32 v37, 0xbec3ef15, v30
	v_fmac_f32_e32 v37, 0xbf6c835e, v31
	v_fma_f32 v17, v17, 2.0, -v35
	v_fma_f32 v11, v11, 2.0, -v33
	;; [unrolled: 1-line block ×5, first 2 shown]
	v_mov_b32_e32 v36, v17
	v_fma_f32 v22, v22, 2.0, -v32
	v_mov_b32_e32 v35, v11
	v_fmac_f32_e32 v36, 0xbf3504f3, v19
	v_fmac_f32_e32 v35, 0xbf3504f3, v22
	v_fmac_f32_e32 v36, 0x3f3504f3, v22
	v_fmac_f32_e32 v35, 0xbf3504f3, v19
	v_fma_f32 v15, v15, 2.0, -v29
	v_fma_f32 v49, v17, 2.0, -v36
	;; [unrolled: 1-line block ×4, first 2 shown]
	v_mov_b32_e32 v11, v15
	v_fmac_f32_e32 v11, 0xbf6c835e, v17
	v_fma_f32 v19, v21, 2.0, -v27
	v_fmac_f32_e32 v11, 0x3ec3ef15, v19
	v_fma_f32 v22, v15, 2.0, -v11
	v_fma_f32 v15, v10, 2.0, -v26
	;; [unrolled: 1-line block ×3, first 2 shown]
	v_mov_b32_e32 v10, v15
	v_fma_f32 v45, v14, 2.0, -v1
	v_fma_f32 v44, v12, 2.0, -v0
	v_mov_b32_e32 v38, v24
	v_fmac_f32_e32 v10, 0xbf6c835e, v19
	v_fma_f32 v14, v9, 2.0, -v14
	v_fma_f32 v9, v16, 2.0, -v20
	;; [unrolled: 1-line block ×4, first 2 shown]
	v_fmac_f32_e32 v38, 0xbec3ef15, v31
	v_fmac_f32_e32 v10, 0xbec3ef15, v17
	v_sub_f32_e32 v9, v14, v9
	v_sub_f32_e32 v8, v12, v8
	v_fmac_f32_e32 v38, 0x3f6c835e, v30
	v_fma_f32 v21, v15, 2.0, -v10
	v_fma_f32 v20, v14, 2.0, -v9
	;; [unrolled: 1-line block ×3, first 2 shown]
	v_mov_b32_e32 v56, 0
	v_lshlrev_b32_e32 v12, 7, v112
	v_fma_f32 v43, v39, 2.0, -v7
	v_fma_f32 v40, v33, 2.0, -v4
	;; [unrolled: 1-line block ×5, first 2 shown]
	ds_write_b128 v12, v[19:22]
	ds_write_b128 v12, v[48:51] offset:16
	ds_write_b128 v12, v[44:47] offset:32
	ds_write_b128 v12, v[40:43] offset:48
	ds_write_b128 v12, v[8:11] offset:64
	ds_write_b128 v12, v[35:38] offset:80
	ds_write_b128 v12, v[0:3] offset:96
	ds_write_b128 v12, v[4:7] offset:112
.LBB0_9:
	s_or_b64 exec, exec, s[2:3]
	v_mov_b32_e32 v8, 3
	v_and_b32_e32 v36, 15, v112
	v_lshlrev_b32_sdwa v115, v8, v112 dst_sel:DWORD dst_unused:UNUSED_PAD src0_sel:DWORD src1_sel:WORD_0
	v_lshlrev_b32_e32 v8, 4, v36
	s_load_dwordx4 s[4:7], s[6:7], 0x0
	s_waitcnt lgkmcnt(0)
	s_barrier
	ds_read_b64 v[30:31], v115
	ds_read_b64 v[12:13], v115 offset:10368
	ds_read_b64 v[14:15], v115 offset:20736
	;; [unrolled: 1-line block ×11, first 2 shown]
	global_load_dwordx4 v[8:11], v8, s[10:11]
	v_add_co_u32_e32 v100, vcc, 0x144, v112
	v_addc_co_u32_e64 v65, s[2:3], 0, 0, vcc
	v_add_co_u32_e32 v99, vcc, 0x288, v112
	s_movk_i32 s2, 0x3cc
	v_add_co_u32_e32 v98, vcc, s2, v112
	s_mov_b32 s2, 0xaaab
	v_mov_b32_e32 v101, s11
	s_waitcnt vmcnt(0) lgkmcnt(10)
	v_mul_f32_e32 v37, v13, v9
	v_fma_f32 v48, v12, v8, -v37
	v_mul_f32_e32 v50, v12, v9
	s_waitcnt lgkmcnt(9)
	v_mul_f32_e32 v12, v15, v11
	v_fmac_f32_e32 v50, v13, v8
	v_fma_f32 v49, v14, v10, -v12
	v_mul_f32_e32 v51, v14, v11
	buffer_store_dword v8, off, s[20:23], 0 ; 4-byte Folded Spill
	s_nop 0
	buffer_store_dword v9, off, s[20:23], 0 offset:4 ; 4-byte Folded Spill
	buffer_store_dword v10, off, s[20:23], 0 offset:8 ; 4-byte Folded Spill
	;; [unrolled: 1-line block ×3, first 2 shown]
	v_and_b32_e32 v37, 15, v100
	v_lshlrev_b32_e32 v12, 4, v37
	v_fmac_f32_e32 v51, v15, v10
	global_load_dwordx4 v[8:11], v12, s[10:11]
	s_waitcnt vmcnt(0) lgkmcnt(7)
	v_mul_f32_e32 v38, v17, v9
	v_fma_f32 v40, v16, v8, -v38
	v_mul_f32_e32 v41, v16, v9
	s_waitcnt lgkmcnt(6)
	v_mul_f32_e32 v16, v19, v11
	v_fmac_f32_e32 v41, v17, v8
	v_fma_f32 v42, v18, v10, -v16
	v_mul_f32_e32 v43, v18, v11
	buffer_store_dword v8, off, s[20:23], 0 offset:16 ; 4-byte Folded Spill
	s_nop 0
	buffer_store_dword v9, off, s[20:23], 0 offset:20 ; 4-byte Folded Spill
	buffer_store_dword v10, off, s[20:23], 0 offset:24 ; 4-byte Folded Spill
	;; [unrolled: 1-line block ×3, first 2 shown]
	v_and_b32_e32 v38, 15, v99
	v_lshlrev_b32_e32 v16, 4, v38
	v_fmac_f32_e32 v43, v19, v10
	global_load_dwordx4 v[8:11], v16, s[10:11]
	s_waitcnt vmcnt(0) lgkmcnt(4)
	v_mul_f32_e32 v39, v21, v9
	v_fma_f32 v44, v20, v8, -v39
	v_mul_f32_e32 v45, v20, v9
	s_waitcnt lgkmcnt(3)
	v_mul_f32_e32 v20, v23, v11
	v_fmac_f32_e32 v45, v21, v8
	v_fma_f32 v46, v22, v10, -v20
	v_mul_f32_e32 v47, v22, v11
	buffer_store_dword v8, off, s[20:23], 0 offset:32 ; 4-byte Folded Spill
	s_nop 0
	buffer_store_dword v9, off, s[20:23], 0 offset:36 ; 4-byte Folded Spill
	buffer_store_dword v10, off, s[20:23], 0 offset:40 ; 4-byte Folded Spill
	;; [unrolled: 1-line block ×3, first 2 shown]
	v_and_b32_e32 v39, 15, v98
	v_lshlrev_b32_e32 v20, 4, v39
	v_mov_b32_e32 v21, v96
	v_fmac_f32_e32 v47, v23, v10
	global_load_dwordx4 v[8:11], v20, s[10:11]
	s_waitcnt vmcnt(0) lgkmcnt(1)
	v_mul_f32_e32 v52, v35, v9
	v_fma_f32 v52, v34, v8, -v52
	v_mul_f32_e32 v53, v34, v9
	s_waitcnt lgkmcnt(0)
	v_mul_f32_e32 v34, v33, v11
	v_fmac_f32_e32 v53, v35, v8
	v_fma_f32 v54, v32, v10, -v34
	v_mul_f32_e32 v55, v32, v11
	buffer_store_dword v8, off, s[20:23], 0 offset:48 ; 4-byte Folded Spill
	s_nop 0
	buffer_store_dword v9, off, s[20:23], 0 offset:52 ; 4-byte Folded Spill
	buffer_store_dword v10, off, s[20:23], 0 offset:56 ; 4-byte Folded Spill
	;; [unrolled: 1-line block ×3, first 2 shown]
	v_add_f32_e32 v32, v30, v48
	v_add_f32_e32 v35, v50, v51
	;; [unrolled: 1-line block ×3, first 2 shown]
	s_waitcnt vmcnt(0)
	s_barrier
	v_fmac_f32_e32 v55, v33, v10
	v_add_f32_e32 v33, v48, v49
	v_fma_f32 v30, -0.5, v33, v30
	v_sub_f32_e32 v33, v50, v51
	v_mov_b32_e32 v34, v30
	v_fmac_f32_e32 v34, 0x3f5db3d7, v33
	v_fmac_f32_e32 v30, 0xbf5db3d7, v33
	v_add_f32_e32 v33, v31, v50
	v_fmac_f32_e32 v31, -0.5, v35
	v_sub_f32_e32 v48, v48, v49
	v_mov_b32_e32 v35, v31
	v_add_f32_e32 v49, v40, v42
	v_fmac_f32_e32 v35, 0xbf5db3d7, v48
	v_fmac_f32_e32 v31, 0x3f5db3d7, v48
	v_add_f32_e32 v48, v28, v40
	v_fma_f32 v28, -0.5, v49, v28
	v_sub_f32_e32 v49, v41, v43
	v_mov_b32_e32 v50, v28
	v_fmac_f32_e32 v50, 0x3f5db3d7, v49
	v_fmac_f32_e32 v28, 0xbf5db3d7, v49
	v_add_f32_e32 v49, v29, v41
	v_add_f32_e32 v41, v41, v43
	v_fmac_f32_e32 v29, -0.5, v41
	v_add_f32_e32 v33, v33, v51
	v_sub_f32_e32 v40, v40, v42
	v_mov_b32_e32 v51, v29
	v_add_f32_e32 v41, v44, v46
	v_fmac_f32_e32 v51, 0xbf5db3d7, v40
	v_fmac_f32_e32 v29, 0x3f5db3d7, v40
	v_add_f32_e32 v40, v26, v44
	v_fma_f32 v26, -0.5, v41, v26
	v_add_f32_e32 v48, v48, v42
	v_add_f32_e32 v49, v49, v43
	v_sub_f32_e32 v41, v45, v47
	v_mov_b32_e32 v42, v26
	v_add_f32_e32 v43, v45, v47
	v_fmac_f32_e32 v42, 0x3f5db3d7, v41
	v_fmac_f32_e32 v26, 0xbf5db3d7, v41
	v_add_f32_e32 v41, v27, v45
	v_fmac_f32_e32 v27, -0.5, v43
	v_sub_f32_e32 v44, v44, v46
	v_mov_b32_e32 v43, v27
	v_add_f32_e32 v45, v52, v54
	v_fmac_f32_e32 v43, 0xbf5db3d7, v44
	v_fmac_f32_e32 v27, 0x3f5db3d7, v44
	v_add_f32_e32 v44, v24, v52
	v_fma_f32 v24, -0.5, v45, v24
	v_add_f32_e32 v40, v40, v46
	v_add_f32_e32 v41, v41, v47
	v_sub_f32_e32 v45, v53, v55
	v_mov_b32_e32 v46, v24
	v_add_f32_e32 v47, v53, v55
	v_fmac_f32_e32 v46, 0x3f5db3d7, v45
	v_fmac_f32_e32 v24, 0xbf5db3d7, v45
	v_add_f32_e32 v45, v25, v53
	v_fmac_f32_e32 v25, -0.5, v47
	v_sub_f32_e32 v52, v52, v54
	v_mov_b32_e32 v47, v25
	v_fmac_f32_e32 v47, 0xbf5db3d7, v52
	v_fmac_f32_e32 v25, 0x3f5db3d7, v52
	v_lshrrev_b32_e32 v52, 4, v112
	v_mul_u32_u24_e32 v52, 48, v52
	v_or_b32_e32 v36, v52, v36
	v_lshlrev_b32_e32 v8, 3, v36
	ds_write_b64 v8, v[30:31] offset:256
	v_lshrrev_b32_e32 v30, 4, v100
	v_mul_u32_u24_e32 v30, 48, v30
	v_or_b32_e32 v30, v30, v37
	ds_write2_b64 v8, v[32:33], v[34:35] offset1:16
	buffer_store_dword v8, off, s[20:23], 0 offset:64 ; 4-byte Folded Spill
	v_lshlrev_b32_e32 v8, 3, v30
	ds_write_b64 v8, v[28:29] offset:256
	v_lshrrev_b32_e32 v28, 4, v99
	v_mul_u32_u24_e32 v28, 48, v28
	v_or_b32_e32 v28, v28, v38
	ds_write2_b64 v8, v[48:49], v[50:51] offset1:16
	buffer_store_dword v8, off, s[20:23], 0 offset:68 ; 4-byte Folded Spill
	;; [unrolled: 7-line block ×3, first 2 shown]
	v_lshlrev_b32_e32 v8, 3, v26
	ds_write_b64 v8, v[24:25] offset:256
	v_mul_u32_u24_sdwa v24, v112, s2 dst_sel:DWORD dst_unused:UNUSED_PAD src0_sel:WORD_0 src1_sel:DWORD
	v_lshrrev_b32_e32 v52, 21, v24
	v_mul_lo_u16_e32 v24, 48, v52
	v_sub_u16_e32 v53, v112, v24
	v_lshlrev_b16_e32 v24, 4, v53
	v_add_co_u32_e32 v24, vcc, s10, v24
	v_add_f32_e32 v44, v44, v54
	v_add_f32_e32 v45, v45, v55
	v_addc_co_u32_e32 v25, vcc, 0, v101, vcc
	ds_write2_b64 v8, v[44:45], v[46:47] offset1:16
	buffer_store_dword v8, off, s[20:23], 0 offset:76 ; 4-byte Folded Spill
	s_waitcnt vmcnt(0) lgkmcnt(0)
	s_barrier
	ds_read_b64 v[46:47], v115
	ds_read_b64 v[28:29], v115 offset:10368
	ds_read_b64 v[30:31], v115 offset:20736
	;; [unrolled: 1-line block ×11, first 2 shown]
	global_load_dwordx4 v[24:27], v[24:25], off offset:256
	s_waitcnt vmcnt(0) lgkmcnt(10)
	v_mul_f32_e32 v54, v29, v25
	v_fma_f32 v59, v28, v24, -v54
	v_mul_f32_e32 v60, v28, v25
	s_waitcnt lgkmcnt(9)
	v_mul_f32_e32 v28, v31, v27
	v_fma_f32 v61, v30, v26, -v28
	v_mul_u32_u24_sdwa v28, v100, s2 dst_sel:DWORD dst_unused:UNUSED_PAD src0_sel:WORD_0 src1_sel:DWORD
	v_lshrrev_b32_e32 v54, 21, v28
	v_mul_lo_u16_e32 v28, 48, v54
	v_sub_u16_e32 v55, v100, v28
	v_lshlrev_b16_e32 v28, 4, v55
	v_add_co_u32_e32 v28, vcc, s10, v28
	v_fmac_f32_e32 v60, v29, v24
	v_mul_f32_e32 v62, v30, v27
	v_addc_co_u32_e32 v29, vcc, 0, v101, vcc
	v_fmac_f32_e32 v62, v31, v26
	global_load_dwordx4 v[28:31], v[28:29], off offset:256
	s_waitcnt vmcnt(0) lgkmcnt(7)
	v_mul_f32_e32 v57, v33, v29
	v_fma_f32 v63, v32, v28, -v57
	v_mul_f32_e32 v64, v32, v29
	s_waitcnt lgkmcnt(6)
	v_mul_f32_e32 v32, v35, v31
	v_fma_f32 v66, v34, v30, -v32
	v_mul_u32_u24_sdwa v32, v99, s2 dst_sel:DWORD dst_unused:UNUSED_PAD src0_sel:WORD_0 src1_sel:DWORD
	v_lshrrev_b32_e32 v57, 21, v32
	v_mul_lo_u16_e32 v32, 48, v57
	v_sub_u16_e32 v58, v99, v32
	v_lshlrev_b16_e32 v32, 4, v58
	v_add_co_u32_e32 v32, vcc, s10, v32
	v_fmac_f32_e32 v64, v33, v28
	v_mul_f32_e32 v67, v34, v31
	v_addc_co_u32_e32 v33, vcc, 0, v101, vcc
	v_fmac_f32_e32 v67, v35, v30
	;; [unrolled: 18-line block ×3, first 2 shown]
	global_load_dwordx4 v[36:39], v[36:37], off offset:256
	s_movk_i32 s2, 0x90
	v_mad_legacy_u16 v52, v52, s2, v53
	v_lshlrev_b32_e32 v8, 3, v52
	s_waitcnt vmcnt(0) lgkmcnt(0)
	s_barrier
	buffer_store_dword v8, off, s[20:23], 0 offset:80 ; 4-byte Folded Spill
	v_mul_f32_e32 v74, v51, v37
	v_mul_f32_e32 v77, v48, v39
	v_fma_f32 v74, v50, v36, -v74
	v_mul_f32_e32 v75, v50, v37
	v_mul_f32_e32 v50, v49, v39
	v_fmac_f32_e32 v77, v49, v38
	v_add_f32_e32 v49, v59, v61
	v_fma_f32 v76, v48, v38, -v50
	v_add_f32_e32 v48, v46, v59
	v_fma_f32 v46, -0.5, v49, v46
	v_fmac_f32_e32 v75, v51, v36
	v_sub_f32_e32 v49, v60, v62
	v_mov_b32_e32 v50, v46
	v_add_f32_e32 v51, v60, v62
	v_fmac_f32_e32 v50, 0x3f5db3d7, v49
	v_fmac_f32_e32 v46, 0xbf5db3d7, v49
	v_add_f32_e32 v49, v47, v60
	v_fmac_f32_e32 v47, -0.5, v51
	v_sub_f32_e32 v59, v59, v61
	v_mov_b32_e32 v51, v47
	v_add_f32_e32 v60, v63, v66
	v_fmac_f32_e32 v51, 0xbf5db3d7, v59
	v_fmac_f32_e32 v47, 0x3f5db3d7, v59
	v_add_f32_e32 v59, v44, v63
	v_fma_f32 v44, -0.5, v60, v44
	v_add_f32_e32 v48, v48, v61
	v_add_f32_e32 v49, v49, v62
	v_sub_f32_e32 v60, v64, v67
	v_mov_b32_e32 v61, v44
	v_add_f32_e32 v62, v64, v67
	v_fmac_f32_e32 v61, 0x3f5db3d7, v60
	v_fmac_f32_e32 v44, 0xbf5db3d7, v60
	v_add_f32_e32 v60, v45, v64
	v_fmac_f32_e32 v45, -0.5, v62
	v_sub_f32_e32 v63, v63, v66
	v_mov_b32_e32 v62, v45
	v_add_f32_e32 v64, v68, v70
	v_fmac_f32_e32 v62, 0xbf5db3d7, v63
	v_fmac_f32_e32 v45, 0x3f5db3d7, v63
	v_add_f32_e32 v63, v42, v68
	v_fma_f32 v42, -0.5, v64, v42
	v_add_f32_e32 v59, v59, v66
	v_add_f32_e32 v60, v60, v67
	v_sub_f32_e32 v64, v69, v71
	v_mov_b32_e32 v66, v42
	v_add_f32_e32 v67, v69, v71
	v_fmac_f32_e32 v66, 0x3f5db3d7, v64
	v_fmac_f32_e32 v42, 0xbf5db3d7, v64
	v_add_f32_e32 v64, v43, v69
	v_fmac_f32_e32 v43, -0.5, v67
	ds_write_b64 v8, v[46:47] offset:768
	v_mad_legacy_u16 v46, v54, s2, v55
	v_sub_f32_e32 v68, v68, v70
	v_mov_b32_e32 v67, v43
	v_add_f32_e32 v69, v74, v76
	ds_write2_b64 v8, v[48:49], v[50:51] offset1:48
	v_lshlrev_b32_e32 v8, 3, v46
	v_fmac_f32_e32 v67, 0xbf5db3d7, v68
	v_fmac_f32_e32 v43, 0x3f5db3d7, v68
	v_add_f32_e32 v68, v40, v74
	v_fma_f32 v40, -0.5, v69, v40
	ds_write_b64 v8, v[44:45] offset:768
	v_mad_legacy_u16 v44, v57, s2, v58
	v_add_f32_e32 v63, v63, v70
	v_add_f32_e32 v64, v64, v71
	v_sub_f32_e32 v69, v75, v77
	v_mov_b32_e32 v70, v40
	v_add_f32_e32 v71, v75, v77
	ds_write2_b64 v8, v[59:60], v[61:62] offset1:48
	buffer_store_dword v8, off, s[20:23], 0 offset:84 ; 4-byte Folded Spill
	v_lshlrev_b32_e32 v8, 3, v44
	v_fmac_f32_e32 v70, 0x3f5db3d7, v69
	v_fmac_f32_e32 v40, 0xbf5db3d7, v69
	v_add_f32_e32 v69, v41, v75
	v_fmac_f32_e32 v41, -0.5, v71
	v_sub_f32_e32 v74, v74, v76
	ds_write_b64 v8, v[42:43] offset:768
	v_mad_legacy_u16 v42, v72, s2, v73
	v_mov_b32_e32 v71, v41
	v_fmac_f32_e32 v41, 0x3f5db3d7, v74
	ds_write2_b64 v8, v[63:64], v[66:67] offset1:48
	buffer_store_dword v8, off, s[20:23], 0 offset:88 ; 4-byte Folded Spill
	v_lshlrev_b32_e32 v8, 3, v42
	s_mov_b32 s2, 0xe38f
	v_add_f32_e32 v68, v68, v76
	v_add_f32_e32 v69, v69, v77
	v_fmac_f32_e32 v71, 0xbf5db3d7, v74
	ds_write_b64 v8, v[40:41] offset:768
	v_mul_u32_u24_sdwa v40, v112, s2 dst_sel:DWORD dst_unused:UNUSED_PAD src0_sel:WORD_0 src1_sel:DWORD
	ds_write2_b64 v8, v[68:69], v[70:71] offset1:48
	v_lshrrev_b32_e32 v70, 23, v40
	v_mul_lo_u16_e32 v40, 0x90, v70
	v_sub_u16_e32 v73, v112, v40
	v_lshlrev_b16_e32 v40, 4, v73
	v_add_co_u32_e32 v40, vcc, s10, v40
	v_addc_co_u32_e32 v41, vcc, 0, v101, vcc
	buffer_store_dword v8, off, s[20:23], 0 offset:92 ; 4-byte Folded Spill
	s_waitcnt vmcnt(0) lgkmcnt(0)
	s_barrier
	ds_read_b64 v[63:64], v115
	ds_read_b64 v[44:45], v115 offset:10368
	ds_read_b64 v[46:47], v115 offset:20736
	;; [unrolled: 1-line block ×11, first 2 shown]
	global_load_dwordx4 v[40:43], v[40:41], off offset:1024
	s_waitcnt vmcnt(0) lgkmcnt(10)
	v_mul_f32_e32 v66, v45, v41
	v_fma_f32 v74, v44, v40, -v66
	v_mul_f32_e32 v75, v44, v41
	s_waitcnt lgkmcnt(9)
	v_mul_f32_e32 v44, v47, v43
	v_fma_f32 v76, v46, v42, -v44
	v_mul_u32_u24_sdwa v44, v100, s2 dst_sel:DWORD dst_unused:UNUSED_PAD src0_sel:WORD_0 src1_sel:DWORD
	v_lshrrev_b32_e32 v68, 23, v44
	v_mul_lo_u16_e32 v44, 0x90, v68
	v_sub_u16_e32 v71, v100, v44
	v_lshlrev_b16_e32 v44, 4, v71
	v_add_co_u32_e32 v44, vcc, s10, v44
	v_fmac_f32_e32 v75, v45, v40
	v_mul_f32_e32 v77, v46, v43
	v_addc_co_u32_e32 v45, vcc, 0, v101, vcc
	v_fmac_f32_e32 v77, v47, v42
	global_load_dwordx4 v[44:47], v[44:45], off offset:1024
	s_waitcnt vmcnt(0) lgkmcnt(7)
	v_mul_f32_e32 v66, v49, v45
	v_fma_f32 v82, v48, v44, -v66
	v_mul_f32_e32 v83, v48, v45
	s_waitcnt lgkmcnt(6)
	v_mul_f32_e32 v48, v51, v47
	v_fma_f32 v84, v50, v46, -v48
	v_mul_u32_u24_sdwa v48, v99, s2 dst_sel:DWORD dst_unused:UNUSED_PAD src0_sel:WORD_0 src1_sel:DWORD
	v_lshrrev_b32_e32 v69, 23, v48
	v_mul_lo_u16_e32 v48, 0x90, v69
	v_sub_u16_e32 v72, v99, v48
	v_lshlrev_b16_e32 v48, 4, v72
	v_add_co_u32_e32 v48, vcc, s10, v48
	v_fmac_f32_e32 v83, v49, v44
	v_mul_f32_e32 v85, v50, v47
	v_addc_co_u32_e32 v49, vcc, 0, v101, vcc
	v_fmac_f32_e32 v85, v51, v46
	;; [unrolled: 18-line block ×3, first 2 shown]
	global_load_dwordx4 v[52:55], v[52:53], off offset:1024
	s_movk_i32 s2, 0x1b0
	v_mad_legacy_u16 v70, v70, s2, v73
	v_lshlrev_b32_e32 v8, 3, v70
	s_waitcnt vmcnt(0) lgkmcnt(0)
	s_barrier
	buffer_store_dword v8, off, s[20:23], 0 offset:96 ; 4-byte Folded Spill
	v_mul_f32_e32 v90, v79, v53
	v_mul_f32_e32 v91, v78, v53
	v_fma_f32 v90, v78, v52, -v90
	v_fmac_f32_e32 v91, v79, v52
	v_mul_f32_e32 v78, v81, v55
	v_add_f32_e32 v79, v74, v76
	v_fma_f32 v92, v80, v54, -v78
	v_add_f32_e32 v78, v63, v74
	v_fma_f32 v63, -0.5, v79, v63
	v_mul_f32_e32 v93, v80, v55
	v_sub_f32_e32 v79, v75, v77
	v_mov_b32_e32 v80, v63
	v_fmac_f32_e32 v80, 0x3f5db3d7, v79
	v_fmac_f32_e32 v63, 0xbf5db3d7, v79
	v_add_f32_e32 v79, v64, v75
	v_add_f32_e32 v75, v75, v77
	v_fmac_f32_e32 v64, -0.5, v75
	v_fmac_f32_e32 v93, v81, v54
	v_sub_f32_e32 v74, v74, v76
	v_mov_b32_e32 v81, v64
	v_add_f32_e32 v75, v82, v84
	v_fmac_f32_e32 v81, 0xbf5db3d7, v74
	v_fmac_f32_e32 v64, 0x3f5db3d7, v74
	v_add_f32_e32 v74, v61, v82
	v_fma_f32 v61, -0.5, v75, v61
	v_add_f32_e32 v78, v78, v76
	v_add_f32_e32 v79, v79, v77
	v_sub_f32_e32 v75, v83, v85
	v_mov_b32_e32 v76, v61
	v_add_f32_e32 v77, v83, v85
	v_fmac_f32_e32 v76, 0x3f5db3d7, v75
	v_fmac_f32_e32 v61, 0xbf5db3d7, v75
	v_add_f32_e32 v75, v62, v83
	v_fmac_f32_e32 v62, -0.5, v77
	v_sub_f32_e32 v82, v82, v84
	v_mov_b32_e32 v77, v62
	v_add_f32_e32 v83, v86, v88
	v_fmac_f32_e32 v77, 0xbf5db3d7, v82
	v_fmac_f32_e32 v62, 0x3f5db3d7, v82
	v_add_f32_e32 v82, v59, v86
	v_fma_f32 v59, -0.5, v83, v59
	v_add_f32_e32 v74, v74, v84
	v_add_f32_e32 v75, v75, v85
	v_sub_f32_e32 v83, v87, v89
	v_mov_b32_e32 v84, v59
	v_add_f32_e32 v85, v87, v89
	v_fmac_f32_e32 v84, 0x3f5db3d7, v83
	v_fmac_f32_e32 v59, 0xbf5db3d7, v83
	v_add_f32_e32 v83, v60, v87
	v_fmac_f32_e32 v60, -0.5, v85
	v_sub_f32_e32 v86, v86, v88
	v_mov_b32_e32 v85, v60
	v_add_f32_e32 v87, v90, v92
	ds_write_b64 v8, v[63:64] offset:2304
	v_mad_legacy_u16 v63, v68, s2, v71
	v_fmac_f32_e32 v85, 0xbf5db3d7, v86
	v_fmac_f32_e32 v60, 0x3f5db3d7, v86
	v_add_f32_e32 v86, v57, v90
	v_fma_f32 v57, -0.5, v87, v57
	ds_write2_b64 v8, v[78:79], v[80:81] offset1:144
	v_lshlrev_b32_e32 v8, 3, v63
	v_add_f32_e32 v82, v82, v88
	v_add_f32_e32 v83, v83, v89
	v_sub_f32_e32 v87, v91, v93
	v_mov_b32_e32 v88, v57
	v_add_f32_e32 v89, v91, v93
	ds_write_b64 v8, v[61:62] offset:2304
	v_mad_legacy_u16 v61, v69, s2, v72
	v_fmac_f32_e32 v88, 0x3f5db3d7, v87
	v_fmac_f32_e32 v57, 0xbf5db3d7, v87
	v_add_f32_e32 v87, v58, v91
	v_fmac_f32_e32 v58, -0.5, v89
	ds_write2_b64 v8, v[74:75], v[76:77] offset1:144
	buffer_store_dword v8, off, s[20:23], 0 offset:100 ; 4-byte Folded Spill
	v_lshlrev_b32_e32 v8, 3, v61
	v_sub_f32_e32 v90, v90, v92
	v_mov_b32_e32 v89, v58
	ds_write_b64 v8, v[59:60] offset:2304
	v_mad_legacy_u16 v59, v66, s2, v67
	v_add_co_u32_e32 v72, vcc, s10, v96
	v_add_f32_e32 v86, v86, v92
	v_add_f32_e32 v87, v87, v93
	v_fmac_f32_e32 v89, 0xbf5db3d7, v90
	v_fmac_f32_e32 v58, 0x3f5db3d7, v90
	ds_write2_b64 v8, v[82:83], v[84:85] offset1:144
	buffer_store_dword v8, off, s[20:23], 0 offset:104 ; 4-byte Folded Spill
	v_lshlrev_b32_e32 v8, 3, v59
	v_addc_co_u32_e32 v73, vcc, v101, v56, vcc
	ds_write2_b64 v8, v[86:87], v[88:89] offset1:144
	buffer_store_dword v8, off, s[20:23], 0 offset:108 ; 4-byte Folded Spill
	ds_write_b64 v8, v[57:58] offset:2304
	s_waitcnt vmcnt(0) lgkmcnt(0)
	s_barrier
	ds_read_b64 v[80:81], v115
	ds_read_b64 v[60:61], v115 offset:10368
	ds_read_b64 v[62:63], v115 offset:20736
	;; [unrolled: 1-line block ×11, first 2 shown]
	global_load_dwordx4 v[56:59], v[72:73], off offset:3328
	s_movk_i32 s2, 0xff94
	s_waitcnt vmcnt(0) lgkmcnt(10)
	v_mul_f32_e32 v64, v61, v57
	v_fma_f32 v90, v60, v56, -v64
	v_mul_f32_e32 v91, v60, v57
	s_waitcnt lgkmcnt(9)
	v_mul_f32_e32 v60, v63, v59
	v_fma_f32 v92, v62, v58, -v60
	v_add_co_u32_e32 v60, vcc, s2, v112
	v_fmac_f32_e32 v91, v61, v56
	v_addc_co_u32_e64 v61, s[2:3], 0, -1, vcc
	s_movk_i32 s2, 0x6c
	v_cmp_gt_u16_e32 vcc, s2, v112
	v_cndmask_b32_e32 v83, v61, v65, vcc
	v_cndmask_b32_e32 v82, v60, v100, vcc
	v_lshlrev_b64 v[60:61], 4, v[82:83]
	v_mul_f32_e32 v93, v62, v59
	v_add_co_u32_e32 v60, vcc, s10, v60
	v_addc_co_u32_e32 v61, vcc, v101, v61, vcc
	v_fmac_f32_e32 v93, v63, v58
	global_load_dwordx4 v[60:63], v[60:61], off offset:3328
	s_movk_i32 s2, 0x6b
	s_waitcnt vmcnt(0) lgkmcnt(7)
	v_mul_f32_e32 v64, v67, v61
	v_fma_f32 v96, v66, v60, -v64
	s_waitcnt lgkmcnt(6)
	v_mul_f32_e32 v64, v69, v63
	v_fma_f32 v102, v68, v62, -v64
	v_lshrrev_b16_e32 v64, 4, v99
	v_mul_u32_u24_e32 v64, 0x12f7, v64
	v_lshrrev_b32_e32 v83, 17, v64
	v_mul_lo_u16_e32 v64, 0x1b0, v83
	v_sub_u16_e32 v88, v99, v64
	v_lshlrev_b16_e32 v64, 4, v88
	v_add_co_u32_e32 v64, vcc, s10, v64
	v_mul_f32_e32 v97, v66, v61
	v_addc_co_u32_e32 v65, vcc, 0, v101, vcc
	v_fmac_f32_e32 v97, v67, v60
	global_load_dwordx4 v[64:67], v[64:65], off offset:3328
	v_mul_f32_e32 v103, v68, v63
	v_fmac_f32_e32 v103, v69, v62
	s_waitcnt vmcnt(0) lgkmcnt(4)
	v_mul_f32_e32 v68, v71, v65
	v_fma_f32 v104, v70, v64, -v68
	s_waitcnt lgkmcnt(3)
	v_mul_f32_e32 v68, v95, v67
	v_fma_f32 v106, v94, v66, -v68
	v_lshrrev_b16_e32 v68, 4, v98
	v_mul_u32_u24_e32 v68, 0x12f7, v68
	v_lshrrev_b32_e32 v68, 17, v68
	v_mul_lo_u16_e32 v68, 0x1b0, v68
	v_sub_u16_e32 v89, v98, v68
	v_lshlrev_b16_e32 v68, 4, v89
	v_add_co_u32_e32 v68, vcc, s10, v68
	v_mul_f32_e32 v105, v70, v65
	v_addc_co_u32_e32 v69, vcc, 0, v101, vcc
	v_fmac_f32_e32 v105, v71, v64
	global_load_dwordx4 v[68:71], v[68:69], off offset:3328
	v_mul_f32_e32 v107, v94, v67
	v_fmac_f32_e32 v107, v95, v66
	v_add_f32_e32 v95, v104, v106
	s_waitcnt vmcnt(0) lgkmcnt(0)
	s_barrier
	v_cmp_lt_u16_e32 vcc, s2, v112
	s_movk_i32 s2, 0x510
	v_mul_f32_e32 v94, v87, v69
	v_mul_f32_e32 v111, v84, v71
	v_fma_f32 v108, v86, v68, -v94
	v_mul_f32_e32 v109, v86, v69
	v_mul_f32_e32 v86, v85, v71
	v_fmac_f32_e32 v111, v85, v70
	v_add_f32_e32 v85, v90, v92
	v_fma_f32 v110, v84, v70, -v86
	v_add_f32_e32 v84, v80, v90
	v_fma_f32 v80, -0.5, v85, v80
	v_fmac_f32_e32 v109, v87, v68
	v_sub_f32_e32 v85, v91, v93
	v_mov_b32_e32 v86, v80
	v_add_f32_e32 v87, v91, v93
	v_fmac_f32_e32 v86, 0x3f5db3d7, v85
	v_fmac_f32_e32 v80, 0xbf5db3d7, v85
	v_add_f32_e32 v85, v81, v91
	v_fmac_f32_e32 v81, -0.5, v87
	v_sub_f32_e32 v90, v90, v92
	v_mov_b32_e32 v87, v81
	v_add_f32_e32 v91, v96, v102
	v_fmac_f32_e32 v87, 0xbf5db3d7, v90
	v_fmac_f32_e32 v81, 0x3f5db3d7, v90
	v_add_f32_e32 v90, v78, v96
	v_fma_f32 v78, -0.5, v91, v78
	v_add_f32_e32 v84, v84, v92
	v_add_f32_e32 v85, v85, v93
	v_sub_f32_e32 v91, v97, v103
	v_mov_b32_e32 v92, v78
	v_add_f32_e32 v93, v97, v103
	v_fmac_f32_e32 v92, 0x3f5db3d7, v91
	v_fmac_f32_e32 v78, 0xbf5db3d7, v91
	v_add_f32_e32 v91, v79, v97
	v_fmac_f32_e32 v79, -0.5, v93
	v_sub_f32_e32 v94, v96, v102
	v_mov_b32_e32 v93, v79
	v_fmac_f32_e32 v93, 0xbf5db3d7, v94
	v_fmac_f32_e32 v79, 0x3f5db3d7, v94
	v_add_f32_e32 v94, v76, v104
	v_fma_f32 v76, -0.5, v95, v76
	v_sub_f32_e32 v95, v105, v107
	v_mov_b32_e32 v96, v76
	v_add_f32_e32 v97, v105, v107
	v_fmac_f32_e32 v96, 0x3f5db3d7, v95
	v_fmac_f32_e32 v76, 0xbf5db3d7, v95
	v_add_f32_e32 v95, v77, v105
	v_fmac_f32_e32 v77, -0.5, v97
	ds_write_b64 v115, v[84:85]
	ds_write_b64 v115, v[86:87] offset:3456
	ds_write_b64 v115, v[80:81] offset:6912
	v_mov_b32_e32 v80, 0x510
	v_add_f32_e32 v90, v90, v102
	v_add_f32_e32 v91, v91, v103
	v_sub_f32_e32 v102, v104, v106
	v_mov_b32_e32 v97, v77
	v_add_f32_e32 v103, v108, v110
	v_cndmask_b32_e32 v80, 0, v80, vcc
	v_fmac_f32_e32 v97, 0xbf5db3d7, v102
	v_fmac_f32_e32 v77, 0x3f5db3d7, v102
	v_add_f32_e32 v102, v74, v108
	v_fma_f32 v74, -0.5, v103, v74
	v_add_lshl_u32 v8, v82, v80, 3
	v_sub_f32_e32 v103, v109, v111
	v_mov_b32_e32 v104, v74
	v_add_f32_e32 v105, v109, v111
	ds_write_b64 v8, v[90:91]
	ds_write_b64 v8, v[92:93] offset:3456
	ds_write_b64 v8, v[78:79] offset:6912
	v_mad_legacy_u16 v78, v83, s2, v88
	s_movk_i32 s2, 0x2000
	v_add_f32_e32 v94, v94, v106
	v_add_f32_e32 v95, v95, v107
	v_fmac_f32_e32 v104, 0x3f5db3d7, v103
	v_fmac_f32_e32 v74, 0xbf5db3d7, v103
	v_add_f32_e32 v103, v75, v109
	v_fmac_f32_e32 v75, -0.5, v105
	v_sub_f32_e32 v106, v108, v110
	buffer_store_dword v8, off, s[20:23], 0 offset:112 ; 4-byte Folded Spill
	v_lshlrev_b32_e32 v8, 3, v78
	v_add_co_u32_e32 v72, vcc, s2, v72
	v_add_f32_e32 v102, v102, v110
	v_add_f32_e32 v103, v103, v111
	v_mov_b32_e32 v105, v75
	v_fmac_f32_e32 v75, 0x3f5db3d7, v106
	ds_write_b64 v8, v[94:95]
	ds_write_b64 v8, v[96:97] offset:3456
	buffer_store_dword v8, off, s[20:23], 0 offset:116 ; 4-byte Folded Spill
	ds_write_b64 v8, v[76:77] offset:6912
	v_lshlrev_b32_e32 v8, 3, v89
	v_addc_co_u32_e32 v73, vcc, 0, v73, vcc
	v_fmac_f32_e32 v105, 0xbf5db3d7, v106
	ds_write_b64 v8, v[102:103] offset:20736
	ds_write_b64 v8, v[104:105] offset:24192
	buffer_store_dword v8, off, s[20:23], 0 offset:120 ; 4-byte Folded Spill
	ds_write_b64 v8, v[74:75] offset:27648
	s_waitcnt vmcnt(0) lgkmcnt(0)
	s_barrier
	ds_read_b64 v[88:89], v115
	ds_read_b64 v[76:77], v115 offset:10368
	ds_read_b64 v[78:79], v115 offset:20736
	;; [unrolled: 1-line block ×11, first 2 shown]
	global_load_dwordx4 v[72:75], v[72:73], off offset:2048
	s_waitcnt vmcnt(0) lgkmcnt(10)
	v_mul_f32_e32 v104, v77, v73
	v_fma_f32 v107, v76, v72, -v104
	v_mul_f32_e32 v108, v76, v73
	s_waitcnt lgkmcnt(9)
	v_mul_f32_e32 v76, v79, v75
	v_fma_f32 v109, v78, v74, -v76
	v_lshlrev_b32_e32 v76, 4, v100
	v_add_co_u32_e32 v76, vcc, s10, v76
	v_fmac_f32_e32 v108, v77, v72
	v_addc_co_u32_e32 v77, vcc, 0, v101, vcc
	v_add_co_u32_e32 v76, vcc, s2, v76
	v_mul_f32_e32 v110, v78, v75
	v_addc_co_u32_e32 v77, vcc, 0, v77, vcc
	v_fmac_f32_e32 v110, v79, v74
	global_load_dwordx4 v[76:79], v[76:77], off offset:2048
	s_waitcnt vmcnt(0) lgkmcnt(7)
	v_mul_f32_e32 v100, v81, v77
	v_fma_f32 v100, v80, v76, -v100
	v_mul_f32_e32 v111, v80, v77
	s_waitcnt lgkmcnt(6)
	v_mul_f32_e32 v80, v83, v79
	v_fma_f32 v116, v82, v78, -v80
	v_lshlrev_b32_e32 v80, 4, v99
	v_add_co_u32_e32 v80, vcc, s10, v80
	v_fmac_f32_e32 v111, v81, v76
	v_addc_co_u32_e32 v81, vcc, 0, v101, vcc
	v_add_co_u32_e32 v80, vcc, s2, v80
	v_mul_f32_e32 v117, v82, v79
	v_addc_co_u32_e32 v81, vcc, 0, v81, vcc
	v_fmac_f32_e32 v117, v83, v78
	;; [unrolled: 16-line block ×3, first 2 shown]
	global_load_dwordx4 v[84:87], v[84:85], off offset:2048
	s_waitcnt vmcnt(0) lgkmcnt(1)
	v_mul_f32_e32 v98, v93, v85
	v_fma_f32 v101, v92, v84, -v98
	v_mul_f32_e32 v121, v92, v85
	s_waitcnt lgkmcnt(0)
	v_mul_f32_e32 v92, v91, v87
	v_fma_f32 v122, v90, v86, -v92
	v_mul_f32_e32 v123, v90, v87
	v_add_f32_e32 v90, v88, v107
	v_add_f32_e32 v104, v90, v109
	;; [unrolled: 1-line block ×3, first 2 shown]
	v_fma_f32 v88, -0.5, v90, v88
	v_sub_f32_e32 v90, v108, v110
	v_mov_b32_e32 v106, v88
	v_fmac_f32_e32 v106, 0x3f5db3d7, v90
	v_fmac_f32_e32 v88, 0xbf5db3d7, v90
	v_add_f32_e32 v90, v89, v108
	v_add_f32_e32 v105, v90, v110
	;; [unrolled: 1-line block ×3, first 2 shown]
	v_fmac_f32_e32 v89, -0.5, v90
	v_fmac_f32_e32 v123, v91, v86
	v_sub_f32_e32 v90, v107, v109
	v_mov_b32_e32 v107, v89
	v_add_f32_e32 v91, v100, v116
	v_fmac_f32_e32 v107, 0xbf5db3d7, v90
	v_fmac_f32_e32 v89, 0x3f5db3d7, v90
	v_add_f32_e32 v90, v94, v100
	v_fma_f32 v94, -0.5, v91, v94
	v_fmac_f32_e32 v121, v93, v84
	v_sub_f32_e32 v91, v111, v117
	v_mov_b32_e32 v92, v94
	v_add_f32_e32 v93, v111, v117
	v_fmac_f32_e32 v92, 0x3f5db3d7, v91
	v_fmac_f32_e32 v94, 0xbf5db3d7, v91
	v_add_f32_e32 v91, v95, v111
	v_fmac_f32_e32 v95, -0.5, v93
	v_sub_f32_e32 v98, v100, v116
	v_mov_b32_e32 v93, v95
	v_fmac_f32_e32 v93, 0xbf5db3d7, v98
	v_fmac_f32_e32 v95, 0x3f5db3d7, v98
	v_add_f32_e32 v98, v96, v99
	v_add_f32_e32 v108, v98, v119
	;; [unrolled: 1-line block ×3, first 2 shown]
	v_fma_f32 v96, -0.5, v98, v96
	v_sub_f32_e32 v98, v118, v120
	v_mov_b32_e32 v110, v96
	v_fmac_f32_e32 v110, 0x3f5db3d7, v98
	v_fmac_f32_e32 v96, 0xbf5db3d7, v98
	v_add_f32_e32 v98, v97, v118
	v_add_f32_e32 v109, v98, v120
	;; [unrolled: 1-line block ×3, first 2 shown]
	v_fmac_f32_e32 v97, -0.5, v98
	v_sub_f32_e32 v98, v99, v119
	v_mov_b32_e32 v111, v97
	v_add_f32_e32 v99, v101, v122
	v_fmac_f32_e32 v111, 0xbf5db3d7, v98
	v_fmac_f32_e32 v97, 0x3f5db3d7, v98
	v_add_f32_e32 v98, v102, v101
	v_fma_f32 v102, -0.5, v99, v102
	v_add_f32_e32 v90, v90, v116
	v_sub_f32_e32 v99, v121, v123
	v_mov_b32_e32 v100, v102
	v_add_f32_e32 v116, v121, v123
	v_fmac_f32_e32 v100, 0x3f5db3d7, v99
	v_fmac_f32_e32 v102, 0xbf5db3d7, v99
	v_add_f32_e32 v99, v103, v121
	v_fmac_f32_e32 v103, -0.5, v116
	v_sub_f32_e32 v116, v101, v122
	v_mov_b32_e32 v101, v103
	v_add_f32_e32 v91, v91, v117
	v_add_f32_e32 v98, v98, v122
	;; [unrolled: 1-line block ×3, first 2 shown]
	v_fmac_f32_e32 v101, 0xbf5db3d7, v116
	v_fmac_f32_e32 v103, 0x3f5db3d7, v116
	ds_write_b64 v115, v[104:105]
	ds_write_b64 v115, v[106:107] offset:10368
	ds_write_b64 v115, v[88:89] offset:20736
	;; [unrolled: 1-line block ×11, first 2 shown]
	s_waitcnt lgkmcnt(0)
	s_barrier
	s_and_saveexec_b64 s[2:3], s[0:1]
	s_cbranch_execz .LBB0_11
; %bb.10:
	v_add_co_u32_e32 v120, vcc, s12, v113
	v_mov_b32_e32 v116, s13
	v_addc_co_u32_e32 v121, vcc, 0, v116, vcc
	v_add_co_u32_e32 v126, vcc, 0x7980, v120
	v_addc_co_u32_e32 v127, vcc, 0, v121, vcc
	v_add_co_u32_e32 v124, vcc, 0x7000, v120
	v_addc_co_u32_e32 v125, vcc, 0, v121, vcc
	global_load_dwordx2 v[124:125], v[124:125], off offset:2432
	ds_read_b64 v[122:123], v115
	v_mov_b32_e32 v8, v112
	v_add_u32_e32 v112, 0x780, v113
	s_mov_b32 s10, 0x9000
	s_waitcnt vmcnt(0) lgkmcnt(0)
	v_mul_f32_e32 v116, v123, v125
	v_mul_f32_e32 v117, v122, v125
	v_fma_f32 v116, v122, v124, -v116
	v_fmac_f32_e32 v117, v123, v124
	ds_write_b64 v115, v[116:117]
	global_load_dwordx2 v[116:117], v[126:127], off offset:1944
	ds_read2_b64 v[122:125], v112 offset0:3 offset1:246
	s_waitcnt vmcnt(0) lgkmcnt(0)
	v_mul_f32_e32 v118, v123, v117
	v_mul_f32_e32 v119, v122, v117
	v_fma_f32 v118, v122, v116, -v118
	v_fmac_f32_e32 v119, v123, v116
	global_load_dwordx2 v[116:117], v[126:127], off offset:3888
	s_waitcnt vmcnt(0)
	v_mul_f32_e32 v122, v125, v117
	v_mul_f32_e32 v123, v124, v117
	v_fma_f32 v122, v124, v116, -v122
	v_fmac_f32_e32 v123, v125, v116
	ds_write2_b64 v112, v[118:119], v[122:123] offset0:3 offset1:246
	v_add_co_u32_e32 v118, vcc, s10, v120
	v_addc_co_u32_e32 v119, vcc, 0, v121, vcc
	global_load_dwordx2 v[122:123], v[118:119], off offset:72
	ds_read_b64 v[116:117], v113 offset:5832
	s_mov_b32 s10, 0xa000
	s_waitcnt vmcnt(0) lgkmcnt(0)
	v_mul_f32_e32 v112, v117, v123
	v_mul_f32_e32 v125, v116, v123
	v_fma_f32 v124, v116, v122, -v112
	v_fmac_f32_e32 v125, v117, v122
	global_load_dwordx2 v[122:123], v[118:119], off offset:2016
	ds_write_b64 v113, v[124:125] offset:5832
	ds_read_b64 v[116:117], v115 offset:7776
	s_waitcnt vmcnt(0) lgkmcnt(0)
	v_mul_f32_e32 v112, v117, v123
	v_mul_f32_e32 v125, v116, v123
	v_fma_f32 v124, v116, v122, -v112
	v_fmac_f32_e32 v125, v117, v122
	global_load_dwordx2 v[116:117], v[118:119], off offset:3960
	ds_write_b64 v115, v[124:125] offset:7776
	v_add_u32_e32 v112, 0x25c0, v113
	ds_read2_b64 v[122:125], v112 offset0:7 offset1:250
	s_waitcnt vmcnt(0) lgkmcnt(0)
	v_mul_f32_e32 v118, v123, v117
	v_mul_f32_e32 v119, v122, v117
	v_fma_f32 v118, v122, v116, -v118
	v_fmac_f32_e32 v119, v123, v116
	v_add_co_u32_e32 v116, vcc, s10, v120
	v_addc_co_u32_e32 v117, vcc, 0, v121, vcc
	global_load_dwordx2 v[122:123], v[116:117], off offset:1808
	s_mov_b32 s10, 0xb000
	global_load_dwordx2 v[116:117], v[116:117], off offset:3752
	s_waitcnt vmcnt(1)
	v_mul_f32_e32 v126, v125, v123
	v_mul_f32_e32 v127, v124, v123
	v_fma_f32 v126, v124, v122, -v126
	v_fmac_f32_e32 v127, v125, v122
	ds_write2_b64 v112, v[118:119], v[126:127] offset0:7 offset1:250
	ds_read_b64 v[118:119], v113 offset:13608
	s_waitcnt vmcnt(0) lgkmcnt(0)
	v_mul_f32_e32 v112, v119, v117
	v_fma_f32 v122, v118, v116, -v112
	v_mul_f32_e32 v123, v118, v117
	v_add_co_u32_e32 v118, vcc, s10, v120
	v_fmac_f32_e32 v123, v119, v116
	v_addc_co_u32_e32 v119, vcc, 0, v121, vcc
	ds_write_b64 v113, v[122:123] offset:13608
	global_load_dwordx2 v[122:123], v[118:119], off offset:1600
	ds_read_b64 v[116:117], v115 offset:15552
	s_mov_b32 s10, 0xc000
	s_waitcnt vmcnt(0) lgkmcnt(0)
	v_mul_f32_e32 v112, v117, v123
	v_mul_f32_e32 v125, v116, v123
	v_fma_f32 v124, v116, v122, -v112
	v_fmac_f32_e32 v125, v117, v122
	global_load_dwordx2 v[116:117], v[118:119], off offset:3544
	ds_write_b64 v115, v[124:125] offset:15552
	v_add_u32_e32 v112, 0x4400, v113
	ds_read2_b64 v[122:125], v112 offset0:11 offset1:254
	s_waitcnt vmcnt(0) lgkmcnt(0)
	v_mul_f32_e32 v118, v123, v117
	v_mul_f32_e32 v119, v122, v117
	v_fma_f32 v118, v122, v116, -v118
	v_fmac_f32_e32 v119, v123, v116
	v_add_co_u32_e32 v116, vcc, s10, v120
	v_addc_co_u32_e32 v117, vcc, 0, v121, vcc
	global_load_dwordx2 v[122:123], v[116:117], off offset:1392
	s_mov_b32 s10, 0xd000
	global_load_dwordx2 v[116:117], v[116:117], off offset:3336
	s_waitcnt vmcnt(1)
	v_mul_f32_e32 v126, v125, v123
	v_mul_f32_e32 v127, v124, v123
	v_fma_f32 v126, v124, v122, -v126
	v_fmac_f32_e32 v127, v125, v122
	ds_write2_b64 v112, v[118:119], v[126:127] offset0:11 offset1:254
	ds_read_b64 v[118:119], v113 offset:21384
	s_waitcnt vmcnt(0) lgkmcnt(0)
	v_mul_f32_e32 v112, v119, v117
	v_fma_f32 v122, v118, v116, -v112
	v_mul_f32_e32 v123, v118, v117
	v_add_co_u32_e32 v118, vcc, s10, v120
	v_fmac_f32_e32 v123, v119, v116
	v_addc_co_u32_e32 v119, vcc, 0, v121, vcc
	ds_write_b64 v113, v[122:123] offset:21384
	global_load_dwordx2 v[122:123], v[118:119], off offset:1184
	ds_read_b64 v[116:117], v115 offset:23328
	s_mov_b32 s10, 0xe000
	s_waitcnt vmcnt(0) lgkmcnt(0)
	v_mul_f32_e32 v112, v117, v123
	v_mul_f32_e32 v125, v116, v123
	v_fma_f32 v124, v116, v122, -v112
	v_fmac_f32_e32 v125, v117, v122
	global_load_dwordx2 v[116:117], v[118:119], off offset:3128
	ds_write_b64 v115, v[124:125] offset:23328
	v_add_u32_e32 v112, 0x6280, v113
	ds_read2_b64 v[122:125], v112 offset0:7 offset1:250
	s_waitcnt vmcnt(0) lgkmcnt(0)
	v_mul_f32_e32 v118, v123, v117
	v_mul_f32_e32 v119, v122, v117
	v_fma_f32 v118, v122, v116, -v118
	v_fmac_f32_e32 v119, v123, v116
	v_add_co_u32_e32 v116, vcc, s10, v120
	v_addc_co_u32_e32 v117, vcc, 0, v121, vcc
	global_load_dwordx2 v[120:121], v[116:117], off offset:976
	s_waitcnt vmcnt(0)
	v_mul_f32_e32 v122, v125, v121
	global_load_dwordx2 v[116:117], v[116:117], off offset:2920
	v_mul_f32_e32 v123, v124, v121
	v_fma_f32 v122, v124, v120, -v122
	v_fmac_f32_e32 v123, v125, v120
	ds_write2_b64 v112, v[118:119], v[122:123] offset0:7 offset1:250
	ds_read_b64 v[118:119], v113 offset:29160
	s_waitcnt vmcnt(0) lgkmcnt(0)
	v_mul_f32_e32 v112, v119, v117
	v_mul_f32_e32 v121, v118, v117
	v_fma_f32 v120, v118, v116, -v112
	v_mov_b32_e32 v112, v8
	v_fmac_f32_e32 v121, v119, v116
	ds_write_b64 v113, v[120:121] offset:29160
.LBB0_11:
	s_or_b64 exec, exec, s[2:3]
	s_waitcnt lgkmcnt(0)
	s_barrier
	s_and_saveexec_b64 s[2:3], s[0:1]
	s_cbranch_execz .LBB0_13
; %bb.12:
	v_add_u32_e32 v0, 0xf00, v115
	ds_read2_b64 v[88:91], v0 offset0:6 offset1:249
	v_add_u32_e32 v0, 0x1e00, v115
	ds_read2_b64 v[92:95], v0 offset0:12 offset1:255
	;; [unrolled: 2-line block ×5, first 2 shown]
	v_add_u32_e32 v0, 0x5b00, v115
	v_add_u32_e32 v4, 0x6a00, v115
	ds_read2_b64 v[104:107], v115 offset1:243
	ds_read2_b64 v[0:3], v0 offset0:4 offset1:247
	ds_read2_b64 v[4:7], v4 offset0:10 offset1:253
.LBB0_13:
	s_or_b64 exec, exec, s[2:3]
	s_waitcnt lgkmcnt(0)
	s_barrier
	s_and_saveexec_b64 s[2:3], s[0:1]
	s_cbranch_execz .LBB0_15
; %bb.14:
	v_sub_f32_e32 v117, v105, v97
	v_mov_b32_e32 v20, v114
	v_sub_f32_e32 v1, v93, v1
	v_sub_f32_e32 v114, v104, v96
	v_mov_b32_e32 v17, v112
	v_sub_f32_e32 v112, v108, v4
	v_sub_f32_e32 v100, v88, v100
	v_add_f32_e32 v8, v1, v114
	v_fma_f32 v9, v105, 2.0, -v117
	v_fma_f32 v1, v93, 2.0, -v1
	v_sub_f32_e32 v99, v107, v99
	v_sub_f32_e32 v122, v94, v2
	v_sub_f32_e32 v2, v95, v3
	v_sub_f32_e32 v10, v9, v1
	v_fma_f32 v11, v88, 2.0, -v100
	v_fma_f32 v1, v108, 2.0, -v112
	v_sub_f32_e32 v0, v92, v0
	v_sub_f32_e32 v6, v110, v6
	v_sub_f32_e32 v102, v90, v102
	v_sub_f32_e32 v88, v11, v1
	;; [unrolled: 6-line block ×3, first 2 shown]
	v_sub_f32_e32 v7, v111, v7
	v_sub_f32_e32 v98, v106, v98
	;; [unrolled: 1-line block ×3, first 2 shown]
	v_fma_f32 v108, v90, 2.0, -v102
	v_fma_f32 v1, v110, 2.0, -v6
	v_sub_f32_e32 v116, v101, v112
	v_mov_b32_e32 v119, v118
	v_add_f32_e32 v120, v5, v100
	v_sub_f32_e32 v121, v103, v6
	v_sub_f32_e32 v123, v99, v122
	v_add_f32_e32 v126, v2, v98
	v_mov_b32_e32 v113, v8
	v_sub_f32_e32 v6, v108, v1
	v_fma_f32 v112, v91, 2.0, -v103
	v_fma_f32 v1, v111, 2.0, -v7
	v_fmac_f32_e32 v119, 0x3f3504f3, v116
	v_mov_b32_e32 v124, v123
	v_add_f32_e32 v125, v7, v102
	v_mov_b32_e32 v127, v126
	v_fmac_f32_e32 v113, 0x3f3504f3, v120
	v_sub_f32_e32 v7, v112, v1
	v_fma_f32 v106, v106, 2.0, -v98
	v_fma_f32 v1, v94, 2.0, -v122
	v_fmac_f32_e32 v119, 0xbf3504f3, v120
	v_fmac_f32_e32 v124, 0x3f3504f3, v121
	;; [unrolled: 1-line block ×4, first 2 shown]
	v_sub_f32_e32 v111, v106, v1
	v_fma_f32 v104, v104, 2.0, -v114
	v_fma_f32 v0, v92, 2.0, -v0
	v_fmac_f32_e32 v124, 0xbf3504f3, v125
	v_fmac_f32_e32 v127, 0x3f3504f3, v121
	v_add_f32_e32 v122, v7, v111
	v_fma_f32 v89, v89, 2.0, -v101
	v_fma_f32 v1, v109, 2.0, -v5
	v_sub_f32_e32 v0, v104, v0
	v_fma_f32 v13, v114, 2.0, -v8
	v_fma_f32 v7, v112, 2.0, -v7
	v_mov_b32_e32 v112, v17
	v_fma_f32 v17, v118, 2.0, -v119
	v_fma_f32 v8, v8, 2.0, -v113
	v_sub_f32_e32 v5, v89, v1
	v_fma_f32 v114, v104, 2.0, -v0
	v_fma_f32 v16, v105, 2.0, -v107
	;; [unrolled: 1-line block ×3, first 2 shown]
	v_mov_b32_e32 v105, v17
	v_fma_f32 v19, v126, 2.0, -v127
	v_mov_b32_e32 v104, v8
	v_add_f32_e32 v92, v5, v0
	v_fmac_f32_e32 v105, 0xbec3ef15, v18
	v_fmac_f32_e32 v104, 0xbec3ef15, v19
	v_sub_f32_e32 v93, v10, v88
	v_fma_f32 v117, v117, 2.0, -v118
	v_fmac_f32_e32 v105, 0xbf6c835e, v19
	v_fmac_f32_e32 v104, 0x3f6c835e, v18
	v_fma_f32 v0, v0, 2.0, -v92
	v_sub_f32_e32 v110, v107, v6
	v_fma_f32 v90, v101, 2.0, -v116
	v_mov_b32_e32 v116, v117
	v_fma_f32 v100, v100, 2.0, -v120
	v_fma_f32 v120, v99, 2.0, -v123
	;; [unrolled: 1-line block ×8, first 2 shown]
	v_mov_b32_e32 v102, v0
	v_fmac_f32_e32 v116, 0xbf3504f3, v90
	v_fma_f32 v99, v103, 2.0, -v121
	v_mov_b32_e32 v121, v120
	v_fma_f32 v12, v98, 2.0, -v126
	v_fma_f32 v9, v9, 2.0, -v10
	;; [unrolled: 1-line block ×3, first 2 shown]
	v_mov_b32_e32 v103, v8
	v_fmac_f32_e32 v102, 0xbf3504f3, v17
	v_fmac_f32_e32 v116, 0xbf3504f3, v100
	;; [unrolled: 1-line block ×3, first 2 shown]
	v_mov_b32_e32 v125, v12
	v_fmac_f32_e32 v103, 0xbf3504f3, v10
	v_fmac_f32_e32 v102, 0x3f3504f3, v10
	;; [unrolled: 1-line block ×4, first 2 shown]
	v_fma_f32 v15, v106, 2.0, -v111
	v_fmac_f32_e32 v103, 0xbf3504f3, v17
	v_fma_f32 v106, v0, 2.0, -v102
	v_fma_f32 v0, v117, 2.0, -v116
	v_fmac_f32_e32 v125, 0x3f3504f3, v99
	v_mov_b32_e32 v14, v13
	v_fma_f32 v107, v8, 2.0, -v103
	v_fma_f32 v8, v120, 2.0, -v121
	v_mov_b32_e32 v123, v0
	v_mov_b32_e32 v4, v119
	v_fmac_f32_e32 v14, 0xbf3504f3, v100
	v_fmac_f32_e32 v123, 0xbf6c835e, v8
	v_fma_f32 v10, v12, 2.0, -v125
	v_fmac_f32_e32 v4, 0x3f6c835e, v124
	v_mov_b32_e32 v3, v113
	v_mov_b32_e32 v2, v93
	v_fmac_f32_e32 v14, 0x3f3504f3, v90
	v_fmac_f32_e32 v123, 0xbec3ef15, v10
	;; [unrolled: 1-line block ×5, first 2 shown]
	v_mov_b32_e32 v1, v92
	v_fma_f32 v127, v0, 2.0, -v123
	v_fma_f32 v0, v13, 2.0, -v14
	v_fmac_f32_e32 v2, 0xbf3504f3, v122
	v_fmac_f32_e32 v1, 0x3f3504f3, v122
	v_fma_f32 v5, v89, 2.0, -v5
	v_mov_b32_e32 v122, v0
	v_sub_f32_e32 v5, v9, v5
	v_sub_f32_e32 v6, v15, v6
	v_fmac_f32_e32 v122, 0xbf6c835e, v10
	v_mov_b32_e32 v90, v14
	v_sub_f32_e32 v89, v5, v6
	v_sub_f32_e32 v7, v16, v7
	v_fmac_f32_e32 v122, 0x3ec3ef15, v8
	v_mov_b32_e32 v91, v116
	v_fmac_f32_e32 v90, 0x3ec3ef15, v125
	v_fma_f32 v99, v5, 2.0, -v89
	v_fma_f32 v11, v11, 2.0, -v88
	;; [unrolled: 1-line block ×5, first 2 shown]
	v_fmac_f32_e32 v91, 0x3ec3ef15, v121
	v_fmac_f32_e32 v90, 0x3f6c835e, v121
	v_sub_f32_e32 v11, v114, v11
	v_sub_f32_e32 v121, v0, v5
	v_fmac_f32_e32 v91, 0xbf6c835e, v125
	v_fma_f32 v125, v0, 2.0, -v121
	v_fma_f32 v0, v114, 2.0, -v11
	;; [unrolled: 1-line block ×3, first 2 shown]
	v_fmac_f32_e32 v3, 0x3ec3ef15, v124
	v_sub_f32_e32 v120, v0, v5
	v_fma_f32 v96, v113, 2.0, -v3
	v_fmac_f32_e32 v1, 0x3f3504f3, v110
	v_add_f32_e32 v88, v7, v11
	v_lshlrev_b32_e32 v113, 3, v112
	v_fma_f32 v124, v0, 2.0, -v120
	v_lshlrev_b32_e32 v0, 3, v21
	v_mov_b32_e32 v114, v20
	v_fma_f32 v97, v119, 2.0, -v4
	v_fma_f32 v95, v93, 2.0, -v2
	;; [unrolled: 1-line block ×6, first 2 shown]
	ds_write_b128 v0, v[124:127]
	ds_write_b128 v0, v[106:109] offset:16
	ds_write_b128 v0, v[98:101] offset:32
	;; [unrolled: 1-line block ×7, first 2 shown]
.LBB0_15:
	s_or_b64 exec, exec, s[2:3]
	s_waitcnt lgkmcnt(0)
	s_barrier
	ds_read_b64 v[0:1], v115
	ds_read_b64 v[2:3], v115 offset:2592
	ds_read_b64 v[4:5], v115 offset:5184
	;; [unrolled: 1-line block ×11, first 2 shown]
	buffer_load_dword v12, off, s[20:23], 0 ; 4-byte Folded Reload
	buffer_load_dword v13, off, s[20:23], 0 offset:4 ; 4-byte Folded Reload
	buffer_load_dword v14, off, s[20:23], 0 offset:8 ; 4-byte Folded Reload
	;; [unrolled: 1-line block ×11, first 2 shown]
	s_waitcnt vmcnt(10) lgkmcnt(7)
	v_mul_f32_e32 v11, v13, v89
	v_mul_f32_e32 v8, v13, v88
	v_fmac_f32_e32 v11, v12, v88
	v_fma_f32 v12, v12, v89, -v8
	s_waitcnt vmcnt(8) lgkmcnt(3)
	v_mul_f32_e32 v13, v15, v97
	v_mul_f32_e32 v8, v15, v96
	v_fmac_f32_e32 v13, v14, v96
	v_fma_f32 v14, v14, v97, -v8
	s_waitcnt vmcnt(6)
	v_mul_f32_e32 v15, v17, v91
	v_mul_f32_e32 v8, v17, v90
	v_fmac_f32_e32 v15, v16, v90
	v_fma_f32 v16, v16, v91, -v8
	s_waitcnt vmcnt(4) lgkmcnt(2)
	v_mul_f32_e32 v17, v19, v99
	v_mul_f32_e32 v8, v19, v98
	v_fmac_f32_e32 v17, v18, v98
	v_fma_f32 v18, v18, v99, -v8
	s_waitcnt vmcnt(2)
	v_mul_f32_e32 v8, v21, v92
	v_mul_f32_e32 v19, v21, v93
	v_fma_f32 v88, v20, v93, -v8
	s_waitcnt vmcnt(0) lgkmcnt(1)
	v_mul_f32_e32 v89, v23, v101
	v_mul_f32_e32 v8, v23, v100
	v_fmac_f32_e32 v19, v20, v92
	v_fmac_f32_e32 v89, v22, v100
	v_fma_f32 v90, v22, v101, -v8
	buffer_load_dword v20, off, s[20:23], 0 offset:48 ; 4-byte Folded Reload
	buffer_load_dword v21, off, s[20:23], 0 offset:52 ; 4-byte Folded Reload
	;; [unrolled: 1-line block ×4, first 2 shown]
	v_add_f32_e32 v9, v11, v13
	s_waitcnt vmcnt(0) lgkmcnt(0)
	s_barrier
	v_mul_f32_e32 v8, v21, v94
	v_fma_f32 v92, v20, v95, -v8
	v_mul_f32_e32 v8, v23, v102
	v_mul_f32_e32 v93, v23, v103
	v_fma_f32 v23, v22, v103, -v8
	v_add_f32_e32 v8, v0, v11
	v_fma_f32 v0, -0.5, v9, v0
	v_sub_f32_e32 v9, v12, v14
	v_mov_b32_e32 v10, v0
	v_fmac_f32_e32 v10, 0xbf5db3d7, v9
	v_fmac_f32_e32 v0, 0x3f5db3d7, v9
	v_add_f32_e32 v9, v1, v12
	v_add_f32_e32 v12, v12, v14
	v_fmac_f32_e32 v1, -0.5, v12
	v_add_f32_e32 v8, v8, v13
	v_sub_f32_e32 v12, v11, v13
	v_mov_b32_e32 v11, v1
	v_add_f32_e32 v13, v15, v17
	v_fmac_f32_e32 v11, 0x3f5db3d7, v12
	v_fmac_f32_e32 v1, 0xbf5db3d7, v12
	v_add_f32_e32 v12, v2, v15
	v_fma_f32 v2, -0.5, v13, v2
	v_add_f32_e32 v9, v9, v14
	v_sub_f32_e32 v13, v16, v18
	v_mov_b32_e32 v14, v2
	v_fmac_f32_e32 v14, 0xbf5db3d7, v13
	v_fmac_f32_e32 v2, 0x3f5db3d7, v13
	v_add_f32_e32 v13, v3, v16
	v_add_f32_e32 v16, v16, v18
	v_fmac_f32_e32 v3, -0.5, v16
	v_add_f32_e32 v12, v12, v17
	v_sub_f32_e32 v16, v15, v17
	v_mov_b32_e32 v15, v3
	v_add_f32_e32 v17, v19, v89
	v_mul_f32_e32 v91, v21, v95
	v_fmac_f32_e32 v15, 0x3f5db3d7, v16
	v_fmac_f32_e32 v3, 0xbf5db3d7, v16
	v_add_f32_e32 v16, v4, v19
	v_fma_f32 v4, -0.5, v17, v4
	v_fmac_f32_e32 v91, v20, v94
	v_add_f32_e32 v13, v13, v18
	v_sub_f32_e32 v17, v88, v90
	v_mov_b32_e32 v18, v4
	v_add_f32_e32 v20, v88, v90
	v_fmac_f32_e32 v93, v22, v102
	v_fmac_f32_e32 v18, 0xbf5db3d7, v17
	;; [unrolled: 1-line block ×3, first 2 shown]
	v_add_f32_e32 v17, v5, v88
	v_fmac_f32_e32 v5, -0.5, v20
	v_sub_f32_e32 v20, v19, v89
	v_mov_b32_e32 v19, v5
	v_add_f32_e32 v21, v91, v93
	v_fmac_f32_e32 v19, 0x3f5db3d7, v20
	v_fmac_f32_e32 v5, 0xbf5db3d7, v20
	v_add_f32_e32 v20, v6, v91
	v_fma_f32 v6, -0.5, v21, v6
	v_sub_f32_e32 v21, v92, v23
	v_mov_b32_e32 v22, v6
	v_fmac_f32_e32 v22, 0xbf5db3d7, v21
	v_fmac_f32_e32 v6, 0x3f5db3d7, v21
	v_add_f32_e32 v21, v7, v92
	v_add_f32_e32 v21, v21, v23
	;; [unrolled: 1-line block ×3, first 2 shown]
	v_fmac_f32_e32 v7, -0.5, v23
	v_sub_f32_e32 v88, v91, v93
	v_mov_b32_e32 v23, v7
	v_fmac_f32_e32 v23, 0x3f5db3d7, v88
	v_fmac_f32_e32 v7, 0xbf5db3d7, v88
	buffer_load_dword v88, off, s[20:23], 0 offset:64 ; 4-byte Folded Reload
	v_add_f32_e32 v16, v16, v89
	v_add_f32_e32 v17, v17, v90
	;; [unrolled: 1-line block ×3, first 2 shown]
	s_waitcnt vmcnt(0)
	ds_write2_b64 v88, v[8:9], v[10:11] offset1:16
	ds_write_b64 v88, v[0:1] offset:256
	buffer_load_dword v0, off, s[20:23], 0 offset:68 ; 4-byte Folded Reload
	s_waitcnt vmcnt(0)
	ds_write2_b64 v0, v[12:13], v[14:15] offset1:16
	ds_write_b64 v0, v[2:3] offset:256
	buffer_load_dword v0, off, s[20:23], 0 offset:72 ; 4-byte Folded Reload
	;; [unrolled: 4-line block ×3, first 2 shown]
	s_waitcnt vmcnt(0)
	ds_write2_b64 v0, v[20:21], v[22:23] offset1:16
	ds_write_b64 v0, v[6:7] offset:256
	s_waitcnt lgkmcnt(0)
	s_barrier
	ds_read_b64 v[0:1], v115
	ds_read_b64 v[2:3], v115 offset:2592
	ds_read_b64 v[4:5], v115 offset:5184
	;; [unrolled: 1-line block ×11, first 2 shown]
	s_waitcnt lgkmcnt(7)
	v_mul_f32_e32 v88, v25, v9
	v_fmac_f32_e32 v88, v24, v8
	v_mul_f32_e32 v8, v25, v8
	v_fma_f32 v24, v24, v9, -v8
	s_waitcnt lgkmcnt(3)
	v_mul_f32_e32 v25, v27, v17
	v_mul_f32_e32 v8, v27, v16
	v_fmac_f32_e32 v25, v26, v16
	v_fma_f32 v16, v26, v17, -v8
	v_mul_f32_e32 v8, v29, v10
	v_fma_f32 v26, v28, v11, -v8
	s_waitcnt lgkmcnt(2)
	v_mul_f32_e32 v27, v31, v19
	v_mul_f32_e32 v8, v31, v18
	;; [unrolled: 1-line block ×3, first 2 shown]
	v_fmac_f32_e32 v27, v30, v18
	v_fma_f32 v18, v30, v19, -v8
	v_mul_f32_e32 v8, v33, v12
	v_fmac_f32_e32 v17, v28, v10
	v_fma_f32 v28, v32, v13, -v8
	s_waitcnt lgkmcnt(1)
	v_mul_f32_e32 v29, v35, v21
	v_mul_f32_e32 v8, v35, v20
	v_fmac_f32_e32 v29, v34, v20
	v_fma_f32 v20, v34, v21, -v8
	v_mul_f32_e32 v8, v37, v14
	v_mul_f32_e32 v19, v33, v13
	v_fma_f32 v31, v36, v15, -v8
	s_waitcnt lgkmcnt(0)
	v_mul_f32_e32 v8, v39, v22
	v_add_f32_e32 v9, v88, v25
	v_fmac_f32_e32 v19, v32, v12
	v_mul_f32_e32 v32, v39, v23
	v_fma_f32 v23, v38, v23, -v8
	v_add_f32_e32 v8, v0, v88
	v_fma_f32 v0, -0.5, v9, v0
	v_sub_f32_e32 v9, v24, v16
	v_mov_b32_e32 v10, v0
	v_add_f32_e32 v11, v24, v16
	v_fmac_f32_e32 v10, 0xbf5db3d7, v9
	v_fmac_f32_e32 v0, 0x3f5db3d7, v9
	v_add_f32_e32 v9, v1, v24
	v_fmac_f32_e32 v1, -0.5, v11
	v_sub_f32_e32 v12, v88, v25
	v_mov_b32_e32 v11, v1
	v_add_f32_e32 v13, v17, v27
	v_mul_f32_e32 v30, v37, v15
	v_fmac_f32_e32 v11, 0x3f5db3d7, v12
	v_fmac_f32_e32 v1, 0xbf5db3d7, v12
	v_add_f32_e32 v12, v2, v17
	v_fma_f32 v2, -0.5, v13, v2
	v_fmac_f32_e32 v30, v36, v14
	v_sub_f32_e32 v13, v26, v18
	v_mov_b32_e32 v14, v2
	v_add_f32_e32 v15, v26, v18
	v_fmac_f32_e32 v14, 0xbf5db3d7, v13
	v_fmac_f32_e32 v2, 0x3f5db3d7, v13
	v_add_f32_e32 v13, v3, v26
	v_fmac_f32_e32 v3, -0.5, v15
	v_add_f32_e32 v9, v9, v16
	v_sub_f32_e32 v16, v17, v27
	v_mov_b32_e32 v15, v3
	v_add_f32_e32 v17, v19, v29
	v_fmac_f32_e32 v15, 0x3f5db3d7, v16
	v_fmac_f32_e32 v3, 0xbf5db3d7, v16
	v_add_f32_e32 v16, v4, v19
	v_fma_f32 v4, -0.5, v17, v4
	v_add_f32_e32 v13, v13, v18
	v_sub_f32_e32 v17, v28, v20
	v_mov_b32_e32 v18, v4
	v_fmac_f32_e32 v18, 0xbf5db3d7, v17
	v_fmac_f32_e32 v4, 0x3f5db3d7, v17
	v_add_f32_e32 v17, v5, v28
	v_add_f32_e32 v17, v17, v20
	v_add_f32_e32 v20, v28, v20
	v_fmac_f32_e32 v32, v38, v22
	v_fmac_f32_e32 v5, -0.5, v20
	v_sub_f32_e32 v20, v19, v29
	v_mov_b32_e32 v19, v5
	v_add_f32_e32 v21, v30, v32
	v_fmac_f32_e32 v19, 0x3f5db3d7, v20
	v_fmac_f32_e32 v5, 0xbf5db3d7, v20
	v_add_f32_e32 v20, v6, v30
	v_fma_f32 v6, -0.5, v21, v6
	v_sub_f32_e32 v21, v31, v23
	v_mov_b32_e32 v22, v6
	v_fmac_f32_e32 v22, 0xbf5db3d7, v21
	v_fmac_f32_e32 v6, 0x3f5db3d7, v21
	v_add_f32_e32 v21, v7, v31
	v_add_f32_e32 v21, v21, v23
	;; [unrolled: 1-line block ×3, first 2 shown]
	v_fmac_f32_e32 v7, -0.5, v23
	v_sub_f32_e32 v24, v30, v32
	v_mov_b32_e32 v23, v7
	v_fmac_f32_e32 v23, 0x3f5db3d7, v24
	v_fmac_f32_e32 v7, 0xbf5db3d7, v24
	s_barrier
	buffer_load_dword v24, off, s[20:23], 0 offset:80 ; 4-byte Folded Reload
	v_add_f32_e32 v8, v8, v25
	s_waitcnt vmcnt(0)
	ds_write2_b64 v24, v[8:9], v[10:11] offset1:48
	ds_write_b64 v24, v[0:1] offset:768
	buffer_load_dword v0, off, s[20:23], 0 offset:84 ; 4-byte Folded Reload
	v_add_f32_e32 v12, v12, v27
	s_waitcnt vmcnt(0)
	ds_write2_b64 v0, v[12:13], v[14:15] offset1:48
	ds_write_b64 v0, v[2:3] offset:768
	;; [unrolled: 5-line block ×4, first 2 shown]
	s_waitcnt lgkmcnt(0)
	s_barrier
	ds_read_b64 v[0:1], v115
	ds_read_b64 v[2:3], v115 offset:2592
	ds_read_b64 v[4:5], v115 offset:5184
	;; [unrolled: 1-line block ×11, first 2 shown]
	s_waitcnt lgkmcnt(7)
	v_mul_f32_e32 v24, v41, v9
	v_fmac_f32_e32 v24, v40, v8
	v_mul_f32_e32 v8, v41, v8
	v_fma_f32 v25, v40, v9, -v8
	s_waitcnt lgkmcnt(3)
	v_mul_f32_e32 v26, v43, v17
	v_mul_f32_e32 v8, v43, v16
	v_fmac_f32_e32 v26, v42, v16
	v_fma_f32 v16, v42, v17, -v8
	v_mul_f32_e32 v8, v45, v10
	v_fma_f32 v27, v44, v11, -v8
	s_waitcnt lgkmcnt(2)
	v_mul_f32_e32 v28, v47, v19
	v_mul_f32_e32 v8, v47, v18
	v_fmac_f32_e32 v28, v46, v18
	v_fma_f32 v18, v46, v19, -v8
	;; [unrolled: 7-line block ×3, first 2 shown]
	v_mul_f32_e32 v8, v53, v14
	v_fma_f32 v32, v52, v15, -v8
	s_waitcnt lgkmcnt(0)
	v_mul_f32_e32 v8, v55, v22
	v_add_f32_e32 v9, v24, v26
	v_mul_f32_e32 v17, v45, v11
	v_mul_f32_e32 v33, v55, v23
	v_fma_f32 v23, v54, v23, -v8
	v_add_f32_e32 v8, v0, v24
	v_fma_f32 v0, -0.5, v9, v0
	v_fmac_f32_e32 v17, v44, v10
	v_sub_f32_e32 v9, v25, v16
	v_mov_b32_e32 v10, v0
	v_add_f32_e32 v11, v25, v16
	v_mul_f32_e32 v19, v49, v13
	v_fmac_f32_e32 v10, 0xbf5db3d7, v9
	v_fmac_f32_e32 v0, 0x3f5db3d7, v9
	v_add_f32_e32 v9, v1, v25
	v_fmac_f32_e32 v1, -0.5, v11
	v_fmac_f32_e32 v19, v48, v12
	v_sub_f32_e32 v12, v24, v26
	v_mov_b32_e32 v11, v1
	v_add_f32_e32 v13, v17, v28
	v_mul_f32_e32 v31, v53, v15
	v_fmac_f32_e32 v11, 0x3f5db3d7, v12
	v_fmac_f32_e32 v1, 0xbf5db3d7, v12
	v_add_f32_e32 v12, v2, v17
	v_fma_f32 v2, -0.5, v13, v2
	v_fmac_f32_e32 v31, v52, v14
	v_sub_f32_e32 v13, v27, v18
	v_mov_b32_e32 v14, v2
	v_add_f32_e32 v15, v27, v18
	v_fmac_f32_e32 v14, 0xbf5db3d7, v13
	v_fmac_f32_e32 v2, 0x3f5db3d7, v13
	v_add_f32_e32 v13, v3, v27
	v_fmac_f32_e32 v3, -0.5, v15
	v_add_f32_e32 v9, v9, v16
	v_sub_f32_e32 v16, v17, v28
	v_mov_b32_e32 v15, v3
	v_add_f32_e32 v17, v19, v30
	v_fmac_f32_e32 v15, 0x3f5db3d7, v16
	v_fmac_f32_e32 v3, 0xbf5db3d7, v16
	v_add_f32_e32 v16, v4, v19
	v_fma_f32 v4, -0.5, v17, v4
	v_add_f32_e32 v13, v13, v18
	v_sub_f32_e32 v17, v29, v20
	v_mov_b32_e32 v18, v4
	v_fmac_f32_e32 v18, 0xbf5db3d7, v17
	v_fmac_f32_e32 v4, 0x3f5db3d7, v17
	v_add_f32_e32 v17, v5, v29
	v_add_f32_e32 v17, v17, v20
	;; [unrolled: 1-line block ×3, first 2 shown]
	v_fmac_f32_e32 v33, v54, v22
	v_fmac_f32_e32 v5, -0.5, v20
	v_sub_f32_e32 v20, v19, v30
	v_mov_b32_e32 v19, v5
	v_add_f32_e32 v21, v31, v33
	v_fmac_f32_e32 v19, 0x3f5db3d7, v20
	v_fmac_f32_e32 v5, 0xbf5db3d7, v20
	v_add_f32_e32 v20, v6, v31
	v_fma_f32 v6, -0.5, v21, v6
	v_sub_f32_e32 v21, v32, v23
	v_mov_b32_e32 v22, v6
	v_fmac_f32_e32 v22, 0xbf5db3d7, v21
	v_fmac_f32_e32 v6, 0x3f5db3d7, v21
	v_add_f32_e32 v21, v7, v32
	v_add_f32_e32 v21, v21, v23
	;; [unrolled: 1-line block ×3, first 2 shown]
	v_fmac_f32_e32 v7, -0.5, v23
	v_sub_f32_e32 v24, v31, v33
	v_mov_b32_e32 v23, v7
	v_fmac_f32_e32 v23, 0x3f5db3d7, v24
	v_fmac_f32_e32 v7, 0xbf5db3d7, v24
	s_barrier
	buffer_load_dword v24, off, s[20:23], 0 offset:96 ; 4-byte Folded Reload
	v_add_f32_e32 v8, v8, v26
	s_waitcnt vmcnt(0)
	ds_write2_b64 v24, v[8:9], v[10:11] offset1:144
	ds_write_b64 v24, v[0:1] offset:2304
	buffer_load_dword v0, off, s[20:23], 0 offset:100 ; 4-byte Folded Reload
	v_add_f32_e32 v12, v12, v28
	s_waitcnt vmcnt(0)
	ds_write2_b64 v0, v[12:13], v[14:15] offset1:144
	ds_write_b64 v0, v[2:3] offset:2304
	;; [unrolled: 5-line block ×4, first 2 shown]
	s_waitcnt lgkmcnt(0)
	s_barrier
	ds_read_b64 v[0:1], v115
	ds_read_b64 v[2:3], v115 offset:2592
	ds_read_b64 v[4:5], v115 offset:5184
	ds_read_b64 v[6:7], v115 offset:7776
	ds_read_b64 v[8:9], v115 offset:10368
	ds_read_b64 v[10:11], v115 offset:12960
	ds_read_b64 v[12:13], v115 offset:15552
	ds_read_b64 v[14:15], v115 offset:18144
	ds_read_b64 v[16:17], v115 offset:20736
	ds_read_b64 v[18:19], v115 offset:23328
	ds_read_b64 v[20:21], v115 offset:25920
	ds_read_b64 v[22:23], v115 offset:28512
	s_waitcnt lgkmcnt(7)
	v_mul_f32_e32 v24, v57, v9
	v_fmac_f32_e32 v24, v56, v8
	v_mul_f32_e32 v8, v57, v8
	v_fma_f32 v25, v56, v9, -v8
	s_waitcnt lgkmcnt(3)
	v_mul_f32_e32 v26, v59, v17
	v_mul_f32_e32 v8, v59, v16
	v_fmac_f32_e32 v26, v58, v16
	v_fma_f32 v16, v58, v17, -v8
	v_mul_f32_e32 v8, v61, v10
	v_fma_f32 v27, v60, v11, -v8
	s_waitcnt lgkmcnt(2)
	v_mul_f32_e32 v28, v63, v19
	v_mul_f32_e32 v8, v63, v18
	v_fmac_f32_e32 v28, v62, v18
	v_fma_f32 v18, v62, v19, -v8
	;; [unrolled: 7-line block ×3, first 2 shown]
	v_mul_f32_e32 v8, v69, v14
	v_fma_f32 v32, v68, v15, -v8
	s_waitcnt lgkmcnt(0)
	v_mul_f32_e32 v8, v71, v22
	v_add_f32_e32 v9, v24, v26
	v_mul_f32_e32 v17, v61, v11
	v_mul_f32_e32 v33, v71, v23
	v_fma_f32 v23, v70, v23, -v8
	v_add_f32_e32 v8, v0, v24
	v_fma_f32 v0, -0.5, v9, v0
	v_fmac_f32_e32 v17, v60, v10
	v_sub_f32_e32 v9, v25, v16
	v_mov_b32_e32 v10, v0
	v_add_f32_e32 v11, v25, v16
	v_mul_f32_e32 v19, v65, v13
	v_fmac_f32_e32 v10, 0xbf5db3d7, v9
	v_fmac_f32_e32 v0, 0x3f5db3d7, v9
	v_add_f32_e32 v9, v1, v25
	v_fmac_f32_e32 v1, -0.5, v11
	v_fmac_f32_e32 v19, v64, v12
	v_add_f32_e32 v8, v8, v26
	v_add_f32_e32 v9, v9, v16
	v_sub_f32_e32 v12, v24, v26
	v_mov_b32_e32 v11, v1
	v_fmac_f32_e32 v11, 0x3f5db3d7, v12
	v_fmac_f32_e32 v1, 0xbf5db3d7, v12
	s_barrier
	ds_write_b64 v115, v[8:9]
	ds_write_b64 v115, v[10:11] offset:3456
	ds_write_b64 v115, v[0:1] offset:6912
	buffer_load_dword v0, off, s[20:23], 0 offset:112 ; 4-byte Folded Reload
	v_add_f32_e32 v13, v17, v28
	v_mul_f32_e32 v31, v69, v15
	v_add_f32_e32 v12, v2, v17
	v_fma_f32 v2, -0.5, v13, v2
	v_fmac_f32_e32 v31, v68, v14
	v_sub_f32_e32 v13, v27, v18
	v_mov_b32_e32 v14, v2
	v_add_f32_e32 v15, v27, v18
	v_fmac_f32_e32 v14, 0xbf5db3d7, v13
	v_fmac_f32_e32 v2, 0x3f5db3d7, v13
	v_add_f32_e32 v13, v3, v27
	v_fmac_f32_e32 v3, -0.5, v15
	v_add_f32_e32 v12, v12, v28
	v_add_f32_e32 v13, v13, v18
	v_sub_f32_e32 v16, v17, v28
	v_mov_b32_e32 v15, v3
	v_fmac_f32_e32 v15, 0x3f5db3d7, v16
	v_fmac_f32_e32 v3, 0xbf5db3d7, v16
	s_waitcnt vmcnt(0)
	ds_write_b64 v0, v[12:13]
	ds_write_b64 v0, v[14:15] offset:3456
	ds_write_b64 v0, v[2:3] offset:6912
	buffer_load_dword v0, off, s[20:23], 0 offset:116 ; 4-byte Folded Reload
	v_add_f32_e32 v17, v19, v30
	v_add_f32_e32 v16, v4, v19
	v_fma_f32 v4, -0.5, v17, v4
	v_sub_f32_e32 v17, v29, v20
	v_mov_b32_e32 v18, v4
	v_fmac_f32_e32 v18, 0xbf5db3d7, v17
	v_fmac_f32_e32 v4, 0x3f5db3d7, v17
	v_add_f32_e32 v17, v5, v29
	v_add_f32_e32 v17, v17, v20
	;; [unrolled: 1-line block ×3, first 2 shown]
	v_fmac_f32_e32 v5, -0.5, v20
	v_add_f32_e32 v16, v16, v30
	v_sub_f32_e32 v20, v19, v30
	v_mov_b32_e32 v19, v5
	v_fmac_f32_e32 v19, 0x3f5db3d7, v20
	v_fmac_f32_e32 v5, 0xbf5db3d7, v20
	s_waitcnt vmcnt(0)
	ds_write_b64 v0, v[16:17]
	ds_write_b64 v0, v[18:19] offset:3456
	ds_write_b64 v0, v[4:5] offset:6912
	buffer_load_dword v0, off, s[20:23], 0 offset:120 ; 4-byte Folded Reload
	v_fmac_f32_e32 v33, v70, v22
	v_add_f32_e32 v21, v31, v33
	v_add_f32_e32 v20, v6, v31
	v_fma_f32 v6, -0.5, v21, v6
	v_sub_f32_e32 v21, v32, v23
	v_mov_b32_e32 v22, v6
	v_fmac_f32_e32 v22, 0xbf5db3d7, v21
	v_fmac_f32_e32 v6, 0x3f5db3d7, v21
	v_add_f32_e32 v21, v7, v32
	v_add_f32_e32 v21, v21, v23
	;; [unrolled: 1-line block ×3, first 2 shown]
	v_fmac_f32_e32 v7, -0.5, v23
	v_sub_f32_e32 v24, v31, v33
	v_mov_b32_e32 v23, v7
	v_add_f32_e32 v20, v20, v33
	v_fmac_f32_e32 v23, 0x3f5db3d7, v24
	v_fmac_f32_e32 v7, 0xbf5db3d7, v24
	s_waitcnt vmcnt(0)
	ds_write_b64 v0, v[20:21] offset:20736
	ds_write_b64 v0, v[22:23] offset:24192
	;; [unrolled: 1-line block ×3, first 2 shown]
	s_waitcnt lgkmcnt(0)
	s_barrier
	ds_read_b64 v[0:1], v115
	ds_read_b64 v[2:3], v115 offset:2592
	ds_read_b64 v[4:5], v115 offset:5184
	;; [unrolled: 1-line block ×11, first 2 shown]
	s_waitcnt lgkmcnt(7)
	v_mul_f32_e32 v24, v73, v9
	v_fmac_f32_e32 v24, v72, v8
	v_mul_f32_e32 v8, v73, v8
	v_fma_f32 v25, v72, v9, -v8
	s_waitcnt lgkmcnt(3)
	v_mul_f32_e32 v26, v75, v17
	v_mul_f32_e32 v8, v75, v16
	v_fmac_f32_e32 v26, v74, v16
	v_fma_f32 v16, v74, v17, -v8
	v_mul_f32_e32 v8, v77, v10
	v_fma_f32 v27, v76, v11, -v8
	s_waitcnt lgkmcnt(2)
	v_mul_f32_e32 v28, v79, v19
	v_mul_f32_e32 v8, v79, v18
	v_fmac_f32_e32 v28, v78, v18
	v_fma_f32 v18, v78, v19, -v8
	;; [unrolled: 7-line block ×3, first 2 shown]
	v_mul_f32_e32 v8, v85, v14
	v_fma_f32 v32, v84, v15, -v8
	s_waitcnt lgkmcnt(0)
	v_mul_f32_e32 v8, v87, v22
	v_add_f32_e32 v9, v24, v26
	v_mul_f32_e32 v17, v77, v11
	v_mul_f32_e32 v33, v87, v23
	v_fma_f32 v23, v86, v23, -v8
	v_add_f32_e32 v8, v0, v24
	v_fma_f32 v0, -0.5, v9, v0
	v_fmac_f32_e32 v17, v76, v10
	v_sub_f32_e32 v9, v25, v16
	v_mov_b32_e32 v10, v0
	v_add_f32_e32 v11, v25, v16
	v_mul_f32_e32 v19, v81, v13
	v_fmac_f32_e32 v10, 0xbf5db3d7, v9
	v_fmac_f32_e32 v0, 0x3f5db3d7, v9
	v_add_f32_e32 v9, v1, v25
	v_fmac_f32_e32 v1, -0.5, v11
	v_fmac_f32_e32 v19, v80, v12
	v_sub_f32_e32 v12, v24, v26
	v_mov_b32_e32 v11, v1
	v_add_f32_e32 v13, v17, v28
	v_mul_f32_e32 v31, v85, v15
	v_fmac_f32_e32 v11, 0x3f5db3d7, v12
	v_fmac_f32_e32 v1, 0xbf5db3d7, v12
	v_add_f32_e32 v12, v2, v17
	v_fma_f32 v2, -0.5, v13, v2
	v_fmac_f32_e32 v31, v84, v14
	v_sub_f32_e32 v13, v27, v18
	v_mov_b32_e32 v14, v2
	v_add_f32_e32 v15, v27, v18
	v_fmac_f32_e32 v14, 0xbf5db3d7, v13
	v_fmac_f32_e32 v2, 0x3f5db3d7, v13
	v_add_f32_e32 v13, v3, v27
	v_fmac_f32_e32 v3, -0.5, v15
	v_add_f32_e32 v9, v9, v16
	v_sub_f32_e32 v16, v17, v28
	v_mov_b32_e32 v15, v3
	v_add_f32_e32 v17, v19, v30
	v_fmac_f32_e32 v15, 0x3f5db3d7, v16
	v_fmac_f32_e32 v3, 0xbf5db3d7, v16
	v_add_f32_e32 v16, v4, v19
	v_fma_f32 v4, -0.5, v17, v4
	v_add_f32_e32 v13, v13, v18
	v_sub_f32_e32 v17, v29, v20
	v_mov_b32_e32 v18, v4
	v_fmac_f32_e32 v18, 0xbf5db3d7, v17
	v_fmac_f32_e32 v4, 0x3f5db3d7, v17
	v_add_f32_e32 v17, v5, v29
	v_add_f32_e32 v17, v17, v20
	;; [unrolled: 1-line block ×3, first 2 shown]
	v_fmac_f32_e32 v33, v86, v22
	v_fmac_f32_e32 v5, -0.5, v20
	v_sub_f32_e32 v20, v19, v30
	v_mov_b32_e32 v19, v5
	v_add_f32_e32 v21, v31, v33
	v_fmac_f32_e32 v19, 0x3f5db3d7, v20
	v_fmac_f32_e32 v5, 0xbf5db3d7, v20
	v_add_f32_e32 v20, v6, v31
	v_fma_f32 v6, -0.5, v21, v6
	v_sub_f32_e32 v21, v32, v23
	v_mov_b32_e32 v22, v6
	v_fmac_f32_e32 v22, 0xbf5db3d7, v21
	v_fmac_f32_e32 v6, 0x3f5db3d7, v21
	v_add_f32_e32 v21, v7, v32
	v_add_f32_e32 v21, v21, v23
	;; [unrolled: 1-line block ×3, first 2 shown]
	v_fmac_f32_e32 v7, -0.5, v23
	v_add_f32_e32 v8, v8, v26
	v_sub_f32_e32 v24, v31, v33
	v_mov_b32_e32 v23, v7
	v_add_f32_e32 v12, v12, v28
	v_add_f32_e32 v16, v16, v30
	;; [unrolled: 1-line block ×3, first 2 shown]
	v_fmac_f32_e32 v23, 0x3f5db3d7, v24
	v_fmac_f32_e32 v7, 0xbf5db3d7, v24
	ds_write_b64 v115, v[8:9]
	ds_write_b64 v115, v[10:11] offset:10368
	ds_write_b64 v115, v[0:1] offset:20736
	;; [unrolled: 1-line block ×11, first 2 shown]
	s_waitcnt lgkmcnt(0)
	s_barrier
	s_and_b64 exec, exec, s[0:1]
	s_cbranch_execz .LBB0_17
; %bb.16:
	global_load_dwordx2 v[2:3], v113, s[12:13]
	global_load_dwordx2 v[6:7], v113, s[12:13] offset:1944
	global_load_dwordx2 v[8:9], v113, s[12:13] offset:3888
	v_mov_b32_e32 v0, s13
	v_mad_u64_u32 v[16:17], s[2:3], s4, v112, 0
	v_add_co_u32_e32 v18, vcc, s12, v113
	s_movk_i32 s2, 0x1000
	v_addc_co_u32_e32 v19, vcc, 0, v0, vcc
	v_add_co_u32_e32 v25, vcc, s2, v18
	v_addc_co_u32_e32 v26, vcc, 0, v19, vcc
	global_load_dwordx2 v[0:1], v[25:26], off offset:1736
	v_add_u32_e32 v21, 0x780, v113
	ds_read_b64 v[27:28], v115
	ds_read_b64 v[12:13], v115 offset:7776
	ds_read_b64 v[4:5], v115 offset:15552
	;; [unrolled: 1-line block ×3, first 2 shown]
	ds_read2_b64 v[21:24], v21 offset0:3 offset1:246
	global_load_dwordx2 v[25:26], v[25:26], off offset:3680
	v_mad_u64_u32 v[14:15], s[0:1], s6, v114, 0
	s_mul_i32 s3, s5, 0x798
	s_mul_hi_u32 s6, s4, 0x798
	s_mul_i32 s2, s4, 0x798
	s_movk_i32 s4, 0x2000
	s_add_i32 s3, s6, s3
	v_add_co_u32_e32 v29, vcc, s4, v18
	v_mad_u64_u32 v[33:34], s[6:7], s7, v114, v[15:16]
	v_addc_co_u32_e32 v30, vcc, 0, v19, vcc
	v_mad_u64_u32 v[34:35], s[4:5], s5, v112, v[17:18]
	global_load_dwordx2 v[35:36], v[29:30], off offset:1528
	global_load_dwordx2 v[37:38], v[29:30], off offset:3472
	v_mov_b32_e32 v20, s9
	s_movk_i32 s9, 0x3000
	v_mov_b32_e32 v15, v33
	v_add_co_u32_e32 v31, vcc, s9, v18
	v_lshlrev_b64 v[14:15], 3, v[14:15]
	v_addc_co_u32_e32 v32, vcc, 0, v19, vcc
	v_add_co_u32_e32 v14, vcc, s8, v14
	v_addc_co_u32_e32 v15, vcc, v20, v15, vcc
	s_mov_b32 s0, 0xa88f4696
	s_mov_b32 s1, 0x3f30db20
	v_mov_b32_e32 v17, v34
	v_lshlrev_b64 v[16:17], 3, v[16:17]
	v_mov_b32_e32 v39, s3
	v_add_co_u32_e32 v14, vcc, v14, v16
	v_addc_co_u32_e32 v15, vcc, v15, v17, vcc
	v_add_co_u32_e32 v16, vcc, s2, v14
	v_addc_co_u32_e32 v17, vcc, v15, v39, vcc
	s_movk_i32 s4, 0x4000
	v_mov_b32_e32 v33, s3
	s_waitcnt vmcnt(6) lgkmcnt(4)
	v_mul_f32_e32 v20, v28, v3
	v_mul_f32_e32 v3, v27, v3
	s_waitcnt vmcnt(5) lgkmcnt(0)
	v_mul_f32_e32 v29, v22, v7
	v_mul_f32_e32 v7, v21, v7
	v_fmac_f32_e32 v20, v27, v2
	v_fma_f32 v27, v2, v28, -v3
	v_fmac_f32_e32 v29, v21, v6
	v_fma_f32 v22, v6, v22, -v7
	v_cvt_f64_f32_e32 v[2:3], v20
	v_cvt_f64_f32_e32 v[6:7], v27
	;; [unrolled: 1-line block ×4, first 2 shown]
	v_mul_f64 v[2:3], v[2:3], s[0:1]
	v_mul_f64 v[6:7], v[6:7], s[0:1]
	;; [unrolled: 1-line block ×4, first 2 shown]
	s_waitcnt vmcnt(4)
	v_mul_f32_e32 v30, v24, v9
	v_mul_f32_e32 v9, v23, v9
	v_fmac_f32_e32 v30, v23, v8
	v_fma_f32 v8, v8, v24, -v9
	v_cvt_f32_f64_e32 v2, v[2:3]
	v_cvt_f32_f64_e32 v3, v[6:7]
	;; [unrolled: 1-line block ×4, first 2 shown]
	v_cvt_f64_f32_e32 v[29:30], v30
	v_cvt_f64_f32_e32 v[8:9], v8
	global_store_dwordx2 v[14:15], v[2:3], off
	global_store_dwordx2 v[16:17], v[6:7], off
	ds_read_b64 v[2:3], v113 offset:5832
	v_mul_f64 v[22:23], v[29:30], s[0:1]
	v_mul_f64 v[8:9], v[8:9], s[0:1]
	global_load_dwordx2 v[6:7], v[31:32], off offset:1320
	s_waitcnt vmcnt(6) lgkmcnt(0)
	v_mul_f32_e32 v21, v3, v1
	v_mul_f32_e32 v1, v2, v1
	v_fmac_f32_e32 v21, v2, v0
	v_fma_f32 v0, v0, v3, -v1
	v_cvt_f64_f32_e32 v[0:1], v0
	v_cvt_f32_f64_e32 v20, v[22:23]
	v_cvt_f64_f32_e32 v[29:30], v21
	v_cvt_f32_f64_e32 v21, v[8:9]
	v_mul_f64 v[0:1], v[0:1], s[0:1]
	v_mov_b32_e32 v9, s3
	v_add_co_u32_e32 v8, vcc, s2, v16
	v_addc_co_u32_e32 v9, vcc, v17, v9, vcc
	ds_read_b64 v[14:15], v113 offset:13608
	ds_read_b64 v[22:23], v113 offset:21384
	;; [unrolled: 1-line block ×3, first 2 shown]
	global_store_dwordx2 v[8:9], v[20:21], off
	global_load_dwordx2 v[20:21], v[31:32], off offset:3264
	s_waitcnt vmcnt(7)
	v_mul_f32_e32 v16, v13, v26
	v_mul_f64 v[2:3], v[29:30], s[0:1]
	v_fmac_f32_e32 v16, v12, v25
	v_cvt_f64_f32_e32 v[16:17], v16
	v_cvt_f32_f64_e32 v30, v[0:1]
	v_mul_f32_e32 v0, v12, v26
	v_fma_f32 v0, v25, v13, -v0
	v_cvt_f64_f32_e32 v[12:13], v0
	v_add_co_u32_e32 v24, vcc, s4, v18
	v_mul_f64 v[16:17], v[16:17], s[0:1]
	v_addc_co_u32_e32 v25, vcc, 0, v19, vcc
	global_load_dwordx2 v[31:32], v[24:25], off offset:1112
	v_add_u32_e32 v0, 0x25c0, v113
	v_mul_f64 v[12:13], v[12:13], s[0:1]
	v_cvt_f32_f64_e32 v29, v[2:3]
	ds_read2_b64 v[0:3], v0 offset0:7 offset1:250
	v_add_co_u32_e32 v8, vcc, s2, v8
	v_cvt_f32_f64_e32 v16, v[16:17]
	v_addc_co_u32_e32 v9, vcc, v9, v33, vcc
	s_waitcnt vmcnt(7) lgkmcnt(0)
	v_mul_f32_e32 v17, v1, v36
	v_fmac_f32_e32 v17, v0, v35
	global_store_dwordx2 v[8:9], v[29:30], off
	v_cvt_f64_f32_e32 v[29:30], v17
	v_cvt_f32_f64_e32 v17, v[12:13]
	v_mov_b32_e32 v26, s3
	v_add_co_u32_e32 v8, vcc, s2, v8
	v_addc_co_u32_e32 v9, vcc, v9, v26, vcc
	s_movk_i32 s4, 0x5000
	global_store_dwordx2 v[8:9], v[16:17], off
	v_add_co_u32_e32 v16, vcc, s4, v18
	v_addc_co_u32_e32 v17, vcc, 0, v19, vcc
	v_mul_f64 v[12:13], v[29:30], s[0:1]
	global_load_dwordx2 v[29:30], v[16:17], off offset:904
	v_mul_f32_e32 v0, v0, v36
	global_load_dwordx2 v[24:25], v[24:25], off offset:3056
	v_fma_f32 v0, v35, v1, -v0
	v_cvt_f64_f32_e32 v[0:1], v0
	v_add_co_u32_e32 v8, vcc, s2, v8
	v_cvt_f32_f64_e32 v12, v[12:13]
	v_mul_f64 v[0:1], v[0:1], s[0:1]
	v_addc_co_u32_e32 v9, vcc, v9, v26, vcc
	s_movk_i32 s4, 0x6000
	v_cvt_f32_f64_e32 v13, v[0:1]
	s_waitcnt vmcnt(10)
	v_mul_f32_e32 v0, v3, v38
	v_fmac_f32_e32 v0, v2, v37
	v_mul_f32_e32 v2, v2, v38
	v_fma_f32 v2, v37, v3, -v2
	v_cvt_f64_f32_e32 v[0:1], v0
	v_cvt_f64_f32_e32 v[2:3], v2
	global_store_dwordx2 v[8:9], v[12:13], off
	s_waitcnt vmcnt(8)
	v_mul_f32_e32 v12, v15, v7
	v_mul_f64 v[0:1], v[0:1], s[0:1]
	v_mul_f64 v[2:3], v[2:3], s[0:1]
	v_mul_f32_e32 v7, v14, v7
	v_fmac_f32_e32 v12, v14, v6
	v_fma_f32 v6, v6, v15, -v7
	v_cvt_f64_f32_e32 v[6:7], v6
	v_cvt_f64_f32_e32 v[12:13], v12
	v_add_co_u32_e32 v8, vcc, s2, v8
	v_mul_f64 v[6:7], v[6:7], s[0:1]
	v_cvt_f32_f64_e32 v0, v[0:1]
	v_cvt_f32_f64_e32 v1, v[2:3]
	v_mul_f64 v[2:3], v[12:13], s[0:1]
	v_mov_b32_e32 v12, s3
	v_addc_co_u32_e32 v9, vcc, v9, v12, vcc
	global_store_dwordx2 v[8:9], v[0:1], off
	s_waitcnt vmcnt(7)
	v_mul_f32_e32 v0, v5, v21
	v_fmac_f32_e32 v0, v4, v20
	v_cvt_f32_f64_e32 v13, v[6:7]
	v_cvt_f64_f32_e32 v[6:7], v0
	v_mul_f32_e32 v0, v4, v21
	v_fma_f32 v0, v20, v5, -v0
	v_cvt_f64_f32_e32 v[4:5], v0
	v_add_u32_e32 v0, 0x4400, v113
	v_cvt_f32_f64_e32 v12, v[2:3]
	ds_read2_b64 v[0:3], v0 offset0:11 offset1:254
	v_mov_b32_e32 v14, s3
	v_add_co_u32_e32 v8, vcc, s2, v8
	v_addc_co_u32_e32 v9, vcc, v9, v14, vcc
	v_mul_f64 v[6:7], v[6:7], s[0:1]
	v_mul_f64 v[4:5], v[4:5], s[0:1]
	global_store_dwordx2 v[8:9], v[12:13], off
	s_waitcnt vmcnt(7) lgkmcnt(0)
	v_mul_f32_e32 v12, v1, v32
	v_fmac_f32_e32 v12, v0, v31
	v_mul_f32_e32 v0, v0, v32
	v_fma_f32 v0, v31, v1, -v0
	v_cvt_f64_f32_e32 v[12:13], v12
	v_cvt_f64_f32_e32 v[0:1], v0
	v_cvt_f32_f64_e32 v6, v[6:7]
	v_cvt_f32_f64_e32 v7, v[4:5]
	v_mul_f64 v[4:5], v[12:13], s[0:1]
	v_mul_f64 v[0:1], v[0:1], s[0:1]
	v_mov_b32_e32 v12, s3
	v_add_co_u32_e32 v8, vcc, s2, v8
	v_addc_co_u32_e32 v9, vcc, v9, v12, vcc
	global_store_dwordx2 v[8:9], v[6:7], off
	v_cvt_f32_f64_e32 v4, v[4:5]
	v_cvt_f32_f64_e32 v5, v[0:1]
	v_mov_b32_e32 v7, s3
	v_add_co_u32_e32 v6, vcc, s2, v8
	v_addc_co_u32_e32 v7, vcc, v9, v7, vcc
	s_waitcnt vmcnt(4)
	v_mul_f32_e32 v0, v3, v25
	v_fmac_f32_e32 v0, v2, v24
	v_mul_f32_e32 v2, v2, v25
	v_fma_f32 v2, v24, v3, -v2
	v_cvt_f64_f32_e32 v[0:1], v0
	v_cvt_f64_f32_e32 v[2:3], v2
	global_store_dwordx2 v[6:7], v[4:5], off
	v_mul_f32_e32 v4, v23, v30
	v_mul_f64 v[0:1], v[0:1], s[0:1]
	v_mul_f64 v[2:3], v[2:3], s[0:1]
	v_mul_f32_e32 v8, v22, v30
	v_fmac_f32_e32 v4, v22, v29
	v_fma_f32 v8, v29, v23, -v8
	v_cvt_f64_f32_e32 v[4:5], v4
	v_cvt_f64_f32_e32 v[8:9], v8
	v_add_co_u32_e32 v6, vcc, s2, v6
	v_cvt_f32_f64_e32 v0, v[0:1]
	v_cvt_f32_f64_e32 v1, v[2:3]
	v_mul_f64 v[2:3], v[4:5], s[0:1]
	v_mul_f64 v[4:5], v[8:9], s[0:1]
	v_mov_b32_e32 v8, s3
	v_addc_co_u32_e32 v7, vcc, v7, v8, vcc
	global_store_dwordx2 v[6:7], v[0:1], off
	v_cvt_f32_f64_e32 v0, v[2:3]
	v_cvt_f32_f64_e32 v1, v[4:5]
	v_mov_b32_e32 v3, s3
	v_add_co_u32_e32 v2, vcc, s2, v6
	v_addc_co_u32_e32 v3, vcc, v7, v3, vcc
	global_store_dwordx2 v[2:3], v[0:1], off
	global_load_dwordx2 v[0:1], v[16:17], off offset:2848
	v_add_co_u32_e32 v6, vcc, s2, v2
	s_waitcnt vmcnt(0)
	v_mul_f32_e32 v4, v11, v1
	v_mul_f32_e32 v1, v10, v1
	v_fmac_f32_e32 v4, v10, v0
	v_fma_f32 v0, v0, v11, -v1
	v_cvt_f64_f32_e32 v[4:5], v4
	v_cvt_f64_f32_e32 v[0:1], v0
	v_mul_f64 v[4:5], v[4:5], s[0:1]
	v_mul_f64 v[0:1], v[0:1], s[0:1]
	v_cvt_f32_f64_e32 v4, v[4:5]
	v_cvt_f32_f64_e32 v5, v[0:1]
	v_mov_b32_e32 v0, s3
	v_addc_co_u32_e32 v7, vcc, v3, v0, vcc
	global_store_dwordx2 v[6:7], v[4:5], off
	v_add_co_u32_e32 v4, vcc, s4, v18
	v_addc_co_u32_e32 v5, vcc, 0, v19, vcc
	global_load_dwordx2 v[8:9], v[4:5], off offset:696
	v_add_u32_e32 v0, 0x6280, v113
	ds_read2_b64 v[0:3], v0 offset0:7 offset1:250
	s_movk_i32 s4, 0x7000
	s_waitcnt vmcnt(0) lgkmcnt(0)
	v_mul_f32_e32 v10, v1, v9
	v_fmac_f32_e32 v10, v0, v8
	v_mul_f32_e32 v0, v0, v9
	v_fma_f32 v0, v8, v1, -v0
	v_cvt_f64_f32_e32 v[10:11], v10
	v_cvt_f64_f32_e32 v[0:1], v0
	v_mul_f64 v[8:9], v[10:11], s[0:1]
	v_mul_f64 v[0:1], v[0:1], s[0:1]
	v_cvt_f32_f64_e32 v8, v[8:9]
	v_cvt_f32_f64_e32 v9, v[0:1]
	v_mov_b32_e32 v1, s3
	v_add_co_u32_e32 v0, vcc, s2, v6
	v_addc_co_u32_e32 v1, vcc, v7, v1, vcc
	global_store_dwordx2 v[0:1], v[8:9], off
	global_load_dwordx2 v[4:5], v[4:5], off offset:2640
	v_mov_b32_e32 v8, s3
	s_waitcnt vmcnt(0)
	v_mul_f32_e32 v6, v3, v5
	v_mul_f32_e32 v5, v2, v5
	v_fmac_f32_e32 v6, v2, v4
	v_fma_f32 v4, v4, v3, -v5
	v_cvt_f64_f32_e32 v[2:3], v6
	v_cvt_f64_f32_e32 v[4:5], v4
	v_add_co_u32_e32 v6, vcc, s4, v18
	v_mul_f64 v[2:3], v[2:3], s[0:1]
	v_mul_f64 v[4:5], v[4:5], s[0:1]
	v_addc_co_u32_e32 v7, vcc, 0, v19, vcc
	v_add_co_u32_e32 v0, vcc, s2, v0
	v_addc_co_u32_e32 v1, vcc, v1, v8, vcc
	v_cvt_f32_f64_e32 v2, v[2:3]
	v_cvt_f32_f64_e32 v3, v[4:5]
	global_store_dwordx2 v[0:1], v[2:3], off
	global_load_dwordx2 v[2:3], v[6:7], off offset:488
	v_mov_b32_e32 v6, s3
	v_add_co_u32_e32 v0, vcc, s2, v0
	v_addc_co_u32_e32 v1, vcc, v1, v6, vcc
	s_waitcnt vmcnt(0)
	v_mul_f32_e32 v4, v28, v3
	v_mul_f32_e32 v3, v27, v3
	v_fmac_f32_e32 v4, v27, v2
	v_fma_f32 v5, v2, v28, -v3
	v_cvt_f64_f32_e32 v[2:3], v4
	v_cvt_f64_f32_e32 v[4:5], v5
	v_mul_f64 v[2:3], v[2:3], s[0:1]
	v_mul_f64 v[4:5], v[4:5], s[0:1]
	v_cvt_f32_f64_e32 v2, v[2:3]
	v_cvt_f32_f64_e32 v3, v[4:5]
	global_store_dwordx2 v[0:1], v[2:3], off
.LBB0_17:
	s_endpgm
	.section	.rodata,"a",@progbits
	.p2align	6, 0x0
	.amdhsa_kernel bluestein_single_fwd_len3888_dim1_sp_op_CI_CI
		.amdhsa_group_segment_fixed_size 31104
		.amdhsa_private_segment_fixed_size 128
		.amdhsa_kernarg_size 104
		.amdhsa_user_sgpr_count 6
		.amdhsa_user_sgpr_private_segment_buffer 1
		.amdhsa_user_sgpr_dispatch_ptr 0
		.amdhsa_user_sgpr_queue_ptr 0
		.amdhsa_user_sgpr_kernarg_segment_ptr 1
		.amdhsa_user_sgpr_dispatch_id 0
		.amdhsa_user_sgpr_flat_scratch_init 0
		.amdhsa_user_sgpr_private_segment_size 0
		.amdhsa_uses_dynamic_stack 0
		.amdhsa_system_sgpr_private_segment_wavefront_offset 1
		.amdhsa_system_sgpr_workgroup_id_x 1
		.amdhsa_system_sgpr_workgroup_id_y 0
		.amdhsa_system_sgpr_workgroup_id_z 0
		.amdhsa_system_sgpr_workgroup_info 0
		.amdhsa_system_vgpr_workitem_id 0
		.amdhsa_next_free_vgpr 128
		.amdhsa_next_free_sgpr 24
		.amdhsa_reserve_vcc 1
		.amdhsa_reserve_flat_scratch 0
		.amdhsa_float_round_mode_32 0
		.amdhsa_float_round_mode_16_64 0
		.amdhsa_float_denorm_mode_32 3
		.amdhsa_float_denorm_mode_16_64 3
		.amdhsa_dx10_clamp 1
		.amdhsa_ieee_mode 1
		.amdhsa_fp16_overflow 0
		.amdhsa_exception_fp_ieee_invalid_op 0
		.amdhsa_exception_fp_denorm_src 0
		.amdhsa_exception_fp_ieee_div_zero 0
		.amdhsa_exception_fp_ieee_overflow 0
		.amdhsa_exception_fp_ieee_underflow 0
		.amdhsa_exception_fp_ieee_inexact 0
		.amdhsa_exception_int_div_zero 0
	.end_amdhsa_kernel
	.text
.Lfunc_end0:
	.size	bluestein_single_fwd_len3888_dim1_sp_op_CI_CI, .Lfunc_end0-bluestein_single_fwd_len3888_dim1_sp_op_CI_CI
                                        ; -- End function
	.section	.AMDGPU.csdata,"",@progbits
; Kernel info:
; codeLenInByte = 15184
; NumSgprs: 28
; NumVgprs: 128
; ScratchSize: 128
; MemoryBound: 0
; FloatMode: 240
; IeeeMode: 1
; LDSByteSize: 31104 bytes/workgroup (compile time only)
; SGPRBlocks: 3
; VGPRBlocks: 31
; NumSGPRsForWavesPerEU: 28
; NumVGPRsForWavesPerEU: 128
; Occupancy: 2
; WaveLimiterHint : 1
; COMPUTE_PGM_RSRC2:SCRATCH_EN: 1
; COMPUTE_PGM_RSRC2:USER_SGPR: 6
; COMPUTE_PGM_RSRC2:TRAP_HANDLER: 0
; COMPUTE_PGM_RSRC2:TGID_X_EN: 1
; COMPUTE_PGM_RSRC2:TGID_Y_EN: 0
; COMPUTE_PGM_RSRC2:TGID_Z_EN: 0
; COMPUTE_PGM_RSRC2:TIDIG_COMP_CNT: 0
	.type	__hip_cuid_1e9a508610de1502,@object ; @__hip_cuid_1e9a508610de1502
	.section	.bss,"aw",@nobits
	.globl	__hip_cuid_1e9a508610de1502
__hip_cuid_1e9a508610de1502:
	.byte	0                               ; 0x0
	.size	__hip_cuid_1e9a508610de1502, 1

	.ident	"AMD clang version 19.0.0git (https://github.com/RadeonOpenCompute/llvm-project roc-6.4.0 25133 c7fe45cf4b819c5991fe208aaa96edf142730f1d)"
	.section	".note.GNU-stack","",@progbits
	.addrsig
	.addrsig_sym __hip_cuid_1e9a508610de1502
	.amdgpu_metadata
---
amdhsa.kernels:
  - .args:
      - .actual_access:  read_only
        .address_space:  global
        .offset:         0
        .size:           8
        .value_kind:     global_buffer
      - .actual_access:  read_only
        .address_space:  global
        .offset:         8
        .size:           8
        .value_kind:     global_buffer
      - .actual_access:  read_only
        .address_space:  global
        .offset:         16
        .size:           8
        .value_kind:     global_buffer
      - .actual_access:  read_only
        .address_space:  global
        .offset:         24
        .size:           8
        .value_kind:     global_buffer
      - .actual_access:  read_only
        .address_space:  global
        .offset:         32
        .size:           8
        .value_kind:     global_buffer
      - .offset:         40
        .size:           8
        .value_kind:     by_value
      - .address_space:  global
        .offset:         48
        .size:           8
        .value_kind:     global_buffer
      - .address_space:  global
        .offset:         56
        .size:           8
        .value_kind:     global_buffer
      - .address_space:  global
        .offset:         64
        .size:           8
        .value_kind:     global_buffer
      - .address_space:  global
        .offset:         72
        .size:           8
        .value_kind:     global_buffer
      - .offset:         80
        .size:           4
        .value_kind:     by_value
      - .address_space:  global
        .offset:         88
        .size:           8
        .value_kind:     global_buffer
      - .address_space:  global
        .offset:         96
        .size:           8
        .value_kind:     global_buffer
    .group_segment_fixed_size: 31104
    .kernarg_segment_align: 8
    .kernarg_segment_size: 104
    .language:       OpenCL C
    .language_version:
      - 2
      - 0
    .max_flat_workgroup_size: 324
    .name:           bluestein_single_fwd_len3888_dim1_sp_op_CI_CI
    .private_segment_fixed_size: 128
    .sgpr_count:     28
    .sgpr_spill_count: 0
    .symbol:         bluestein_single_fwd_len3888_dim1_sp_op_CI_CI.kd
    .uniform_work_group_size: 1
    .uses_dynamic_stack: false
    .vgpr_count:     128
    .vgpr_spill_count: 31
    .wavefront_size: 64
amdhsa.target:   amdgcn-amd-amdhsa--gfx906
amdhsa.version:
  - 1
  - 2
...

	.end_amdgpu_metadata
